;; amdgpu-corpus repo=ROCm/rocFFT kind=compiled arch=gfx1030 opt=O3
	.text
	.amdgcn_target "amdgcn-amd-amdhsa--gfx1030"
	.amdhsa_code_object_version 6
	.protected	bluestein_single_fwd_len595_dim1_dp_op_CI_CI ; -- Begin function bluestein_single_fwd_len595_dim1_dp_op_CI_CI
	.globl	bluestein_single_fwd_len595_dim1_dp_op_CI_CI
	.p2align	8
	.type	bluestein_single_fwd_len595_dim1_dp_op_CI_CI,@function
bluestein_single_fwd_len595_dim1_dp_op_CI_CI: ; @bluestein_single_fwd_len595_dim1_dp_op_CI_CI
; %bb.0:
	s_load_dwordx4 s[12:15], s[4:5], 0x28
	v_mul_u32_u24_e32 v1, 0xf10, v0
	s_mov_b64 s[62:63], s[2:3]
	s_mov_b64 s[60:61], s[0:1]
	s_add_u32 s60, s60, s7
	v_lshrrev_b32_e32 v1, 16, v1
	s_addc_u32 s61, s61, 0
	v_mad_u64_u32 v[135:136], null, s6, 3, v[1:2]
	v_mov_b32_e32 v136, 0
                                        ; kill: def $vgpr2 killed $sgpr0 killed $exec
	s_mov_b32 s0, exec_lo
	s_waitcnt lgkmcnt(0)
	v_cmpx_gt_u64_e64 s[12:13], v[135:136]
	s_cbranch_execz .LBB0_10
; %bb.1:
	s_clause 0x1
	s_load_dwordx4 s[8:11], s[4:5], 0x18
	s_load_dwordx4 s[0:3], s[4:5], 0x0
	v_mul_lo_u16 v1, v1, 17
	v_mul_hi_u32 v71, 0xaaaaaaab, v135
	s_mov_b32 s24, 0xe976ee23
	s_mov_b32 s25, 0xbfe11646
	;; [unrolled: 1-line block ×3, first 2 shown]
	v_sub_nc_u16 v72, v0, v1
	s_mov_b32 s26, 0x5476071b
	s_mov_b32 s29, 0xbff2aaaa
	;; [unrolled: 1-line block ×3, first 2 shown]
	v_lshrrev_b32_e32 v71, 1, v71
	v_and_b32_e32 v185, 0xffff, v72
	s_mov_b32 s21, 0xbfe77f67
	s_mov_b32 s23, 0xbfd5d0dc
	;; [unrolled: 1-line block ×3, first 2 shown]
	v_lshl_add_u32 v71, v71, 1, v71
	v_lshlrev_b32_e32 v6, 4, v185
	v_or_b32_e32 v18, 0x220, v185
	s_load_dwordx2 s[4:5], s[4:5], 0x38
	s_waitcnt lgkmcnt(0)
	s_load_dwordx4 s[16:19], s[8:9], 0x0
	v_sub_nc_u32_e32 v71, v135, v71
	v_add_co_u32 v7, s6, s0, v6
	v_add_co_ci_u32_e64 v8, null, s1, 0, s6
	v_lshlrev_b32_e32 v9, 4, v18
	v_add_co_u32 v4, vcc_lo, 0x800, v7
	v_add_co_ci_u32_e32 v5, vcc_lo, 0, v8, vcc_lo
	v_add_co_u32 v2, vcc_lo, 0x1000, v7
	v_add_co_ci_u32_e32 v3, vcc_lo, 0, v8, vcc_lo
	;; [unrolled: 2-line block ×3, first 2 shown]
	s_clause 0x2
	global_load_dwordx4 v[168:171], v6, s[0:1] offset:1360
	global_load_dwordx4 v[246:249], v6, s[0:1]
	global_load_dwordx4 v[148:151], v6, s[0:1] offset:272
	buffer_store_dword v9, off, s[60:63], 0 offset:1368 ; 4-byte Folded Spill
	s_clause 0x4
	global_load_dwordx4 v[140:143], v6, s[0:1] offset:1632
	global_load_dwordx4 v[136:139], v9, s[0:1]
	global_load_dwordx4 v[164:167], v[4:5], off offset:2032
	global_load_dwordx4 v[160:163], v[2:3], off offset:1344
	;; [unrolled: 1-line block ×3, first 2 shown]
	s_waitcnt lgkmcnt(0)
	v_mad_u64_u32 v[9:10], null, s18, v135, 0
	v_mad_u64_u32 v[11:12], null, s16, v185, 0
	;; [unrolled: 1-line block ×3, first 2 shown]
	s_clause 0x2
	global_load_dwordx4 v[156:159], v[0:1], off offset:2016
	global_load_dwordx4 v[172:175], v[4:5], off offset:672
	;; [unrolled: 1-line block ×3, first 2 shown]
	buffer_store_dword v18, off, s[60:63], 0 offset:260 ; 4-byte Folded Spill
	s_mul_i32 s7, s17, 0x550
	v_mad_u64_u32 v[15:16], null, s19, v135, v[10:11]
	v_mov_b32_e32 v10, v14
	v_mad_u64_u32 v[16:17], null, s17, v185, v[12:13]
	s_mul_hi_u32 s9, s16, 0x550
	s_mul_i32 s6, s16, 0x550
	v_mad_u64_u32 v[17:18], null, s17, v18, v[10:11]
	v_mov_b32_e32 v10, v15
	s_add_i32 s7, s9, s7
	v_mov_b32_e32 v12, v16
	s_mul_hi_u32 s13, s16, 0xffffe130
	s_mul_i32 s12, s17, 0xffffe130
	v_lshlrev_b64 v[9:10], 4, v[9:10]
	v_mov_b32_e32 v14, v17
	v_lshlrev_b64 v[11:12], 4, v[11:12]
	s_mul_i32 s8, s16, 0xffffe130
	s_sub_i32 s9, s13, s16
	global_load_dwordx4 v[176:179], v[2:3], off offset:256
	v_add_co_u32 v15, vcc_lo, s14, v9
	v_add_co_ci_u32_e32 v16, vcc_lo, s15, v10, vcc_lo
	v_lshlrev_b64 v[9:10], 4, v[13:14]
	v_add_co_u32 v11, vcc_lo, v15, v11
	v_add_co_ci_u32_e32 v12, vcc_lo, v16, v12, vcc_lo
	s_add_i32 s9, s9, s12
	v_add_co_u32 v13, vcc_lo, v15, v9
	v_add_co_ci_u32_e32 v14, vcc_lo, v16, v10, vcc_lo
	v_add_co_u32 v17, vcc_lo, v11, s6
	v_add_co_ci_u32_e32 v18, vcc_lo, s7, v12, vcc_lo
	s_clause 0x1
	global_load_dwordx4 v[9:12], v[11:12], off
	global_load_dwordx4 v[13:16], v[13:14], off
	v_add_co_u32 v21, vcc_lo, v17, s6
	v_add_co_ci_u32_e32 v22, vcc_lo, s7, v18, vcc_lo
	global_load_dwordx4 v[17:20], v[17:18], off
	v_add_co_u32 v25, vcc_lo, v21, s6
	v_add_co_ci_u32_e32 v26, vcc_lo, s7, v22, vcc_lo
	;; [unrolled: 3-line block ×3, first 2 shown]
	s_mul_i32 s12, s17, 0xffffe680
	v_add_co_u32 v33, vcc_lo, v29, s6
	v_add_co_ci_u32_e32 v34, vcc_lo, s7, v30, vcc_lo
	s_clause 0x1
	global_load_dwordx4 v[25:28], v[25:26], off
	global_load_dwordx4 v[29:32], v[29:30], off
	v_add_co_u32 v37, vcc_lo, v33, s6
	v_add_co_ci_u32_e32 v38, vcc_lo, s7, v34, vcc_lo
	global_load_dwordx4 v[33:36], v[33:34], off
	v_add_co_u32 v41, vcc_lo, v37, s8
	v_add_co_ci_u32_e32 v42, vcc_lo, s9, v38, vcc_lo
	;; [unrolled: 3-line block ×6, first 2 shown]
	s_sub_i32 s12, s12, s16
	v_add_co_u32 v65, vcc_lo, v57, s6
	v_add_co_ci_u32_e32 v66, vcc_lo, s7, v58, vcc_lo
	s_clause 0x1
	global_load_dwordx4 v[214:217], v[2:3], off offset:1616
	global_load_dwordx4 v[194:197], v[0:1], off offset:928
	global_load_dwordx4 v[53:56], v[53:54], off
	global_load_dwordx4 v[57:60], v[57:58], off
	;; [unrolled: 1-line block ×3, first 2 shown]
	v_add_co_u32 v65, vcc_lo, v65, s6
	v_add_co_ci_u32_e32 v66, vcc_lo, s7, v66, vcc_lo
	v_add_co_u32 v125, vcc_lo, 0x2000, v7
	v_add_co_ci_u32_e32 v126, vcc_lo, 0, v8, vcc_lo
	;; [unrolled: 2-line block ×3, first 2 shown]
	global_load_dwordx4 v[222:225], v[125:126], off offset:240
	global_load_dwordx4 v[65:68], v[65:66], off
	global_load_dwordx4 v[226:229], v6, s[0:1] offset:544
	global_load_dwordx4 v[73:76], v[7:8], off
	v_add_co_u32 v7, vcc_lo, v7, s6
	v_add_co_ci_u32_e32 v8, vcc_lo, s7, v8, vcc_lo
	global_load_dwordx4 v[238:241], v6, s[0:1] offset:1904
	v_add_co_u32 v69, vcc_lo, v7, s6
	v_add_co_ci_u32_e32 v70, vcc_lo, s7, v8, vcc_lo
	global_load_dwordx4 v[77:80], v[7:8], off
	global_load_dwordx4 v[202:205], v[4:5], off offset:1216
	global_load_dwordx4 v[81:84], v[69:70], off
	global_load_dwordx4 v[218:221], v[2:3], off offset:528
	v_add_co_u32 v7, vcc_lo, v69, s6
	v_add_co_ci_u32_e32 v8, vcc_lo, s7, v70, vcc_lo
	global_load_dwordx4 v[230:233], v[2:3], off offset:1888
	v_add_co_u32 v69, vcc_lo, v7, s6
	v_add_co_ci_u32_e32 v70, vcc_lo, s7, v8, vcc_lo
	global_load_dwordx4 v[85:88], v[7:8], off
	v_add_co_u32 v7, vcc_lo, v69, s6
	v_add_co_ci_u32_e32 v8, vcc_lo, s7, v70, vcc_lo
	global_load_dwordx4 v[89:92], v[69:70], off
	global_load_dwordx4 v[210:213], v[0:1], off offset:1200
	global_load_dwordx4 v[93:96], v[7:8], off
	global_load_dwordx4 v[190:193], v6, s[0:1] offset:816
	v_mad_u64_u32 v[7:8], null, 0xffffe680, s16, v[7:8]
	v_mul_u32_u24_e32 v71, 0x253, v71
	s_mov_b32 s14, 0x429ad128
	s_mov_b32 s15, 0x3febfeb5
	;; [unrolled: 1-line block ×5, first 2 shown]
	v_add_nc_u32_e32 v8, s12, v8
	v_add_co_u32 v69, vcc_lo, v7, s6
	s_mov_b32 s12, 0x36b3c0b5
	s_mov_b32 s13, 0x3fac98ee
	v_add_co_ci_u32_e32 v70, vcc_lo, s7, v8, vcc_lo
	global_load_dwordx4 v[97:100], v[7:8], off
	global_load_dwordx4 v[198:201], v[4:5], off offset:128
	global_load_dwordx4 v[101:104], v[69:70], off
	v_add_co_u32 v7, vcc_lo, v69, s6
	v_add_co_ci_u32_e32 v8, vcc_lo, s7, v70, vcc_lo
	global_load_dwordx4 v[206:209], v[4:5], off offset:1488
	v_add_co_u32 v113, vcc_lo, v7, s6
	v_add_co_ci_u32_e32 v114, vcc_lo, s7, v8, vcc_lo
	global_load_dwordx4 v[105:108], v[7:8], off
	global_load_dwordx4 v[234:237], v[2:3], off offset:800
	global_load_dwordx4 v[109:112], v[113:114], off
	s_clause 0x2
	global_load_dwordx4 v[180:183], v6, s[0:1] offset:1088
	global_load_dwordx4 v[186:189], v[4:5], off offset:1760
	global_load_dwordx4 v[242:245], v[0:1], off offset:1744
	v_add_co_u32 v113, vcc_lo, v113, s6
	v_add_co_ci_u32_e32 v114, vcc_lo, s7, v114, vcc_lo
	s_mov_b32 s17, 0x3fd5d0dc
	s_mov_b32 s22, s16
	s_waitcnt vmcnt(40)
	v_mul_f64 v[7:8], v[11:12], v[248:249]
	v_mul_f64 v[69:70], v[9:10], v[248:249]
	s_waitcnt vmcnt(39)
	v_mul_f64 v[115:116], v[15:16], v[138:139]
	v_mul_f64 v[117:118], v[13:14], v[138:139]
	;; [unrolled: 3-line block ×5, first 2 shown]
	v_fma_f64 v[7:8], v[9:10], v[246:247], v[7:8]
	buffer_store_dword v246, off, s[60:63], 0 offset:816 ; 4-byte Folded Spill
	buffer_store_dword v247, off, s[60:63], 0 offset:820 ; 4-byte Folded Spill
	;; [unrolled: 1-line block ×4, first 2 shown]
	s_waitcnt vmcnt(35)
	v_mul_f64 v[133:134], v[29:30], v[162:163]
	v_fma_f64 v[9:10], v[11:12], v[246:247], -v[69:70]
	v_fma_f64 v[11:12], v[13:14], v[136:137], v[115:116]
	buffer_store_dword v136, off, s[60:63], 0 offset:272 ; 4-byte Folded Spill
	buffer_store_dword v137, off, s[60:63], 0 offset:276 ; 4-byte Folded Spill
	buffer_store_dword v138, off, s[60:63], 0 offset:280 ; 4-byte Folded Spill
	buffer_store_dword v139, off, s[60:63], 0 offset:284 ; 4-byte Folded Spill
	v_mul_f64 v[69:70], v[31:32], v[162:163]
	s_waitcnt vmcnt(34)
	v_mul_f64 v[115:116], v[35:36], v[154:155]
	v_fma_f64 v[13:14], v[15:16], v[136:137], -v[117:118]
	v_fma_f64 v[15:16], v[17:18], v[168:169], v[119:120]
	buffer_store_dword v168, off, s[60:63], 0 offset:400 ; 4-byte Folded Spill
	buffer_store_dword v169, off, s[60:63], 0 offset:404 ; 4-byte Folded Spill
	buffer_store_dword v170, off, s[60:63], 0 offset:408 ; 4-byte Folded Spill
	buffer_store_dword v171, off, s[60:63], 0 offset:412 ; 4-byte Folded Spill
	v_mul_f64 v[117:118], v[33:34], v[154:155]
	;; [unrolled: 9-line block ×8, first 2 shown]
	s_waitcnt vmcnt(25)
	v_mul_f64 v[123:124], v[63:64], v[196:197]
	v_fma_f64 v[41:42], v[43:44], v[148:149], -v[127:128]
	v_fma_f64 v[43:44], v[45:46], v[140:141], v[129:130]
	buffer_store_dword v140, off, s[60:63], 0 offset:288 ; 4-byte Folded Spill
	buffer_store_dword v141, off, s[60:63], 0 offset:292 ; 4-byte Folded Spill
	;; [unrolled: 1-line block ×4, first 2 shown]
	global_load_dwordx4 v[136:139], v[125:126], off offset:784
	v_mul_f64 v[127:128], v[61:62], v[196:197]
	s_waitcnt vmcnt(24)
	v_mul_f64 v[129:130], v[65:66], v[224:225]
	v_fma_f64 v[45:46], v[47:48], v[140:141], -v[131:132]
	v_fma_f64 v[47:48], v[49:50], v[144:145], v[69:70]
	buffer_store_dword v144, off, s[60:63], 0 offset:304 ; 4-byte Folded Spill
	buffer_store_dword v145, off, s[60:63], 0 offset:308 ; 4-byte Folded Spill
	;; [unrolled: 1-line block ×4, first 2 shown]
	v_mul_f64 v[69:70], v[67:68], v[224:225]
	v_fma_f64 v[49:50], v[51:52], v[144:145], -v[133:134]
	v_fma_f64 v[51:52], v[53:54], v[176:177], v[115:116]
	buffer_store_dword v176, off, s[60:63], 0 offset:432 ; 4-byte Folded Spill
	buffer_store_dword v177, off, s[60:63], 0 offset:436 ; 4-byte Folded Spill
	;; [unrolled: 1-line block ×4, first 2 shown]
	s_waitcnt vmcnt(22)
	v_mul_f64 v[115:116], v[75:76], v[228:229]
	v_fma_f64 v[53:54], v[55:56], v[176:177], -v[117:118]
	v_fma_f64 v[55:56], v[57:58], v[214:215], v[119:120]
	buffer_store_dword v214, off, s[60:63], 0 offset:576 ; 4-byte Folded Spill
	buffer_store_dword v215, off, s[60:63], 0 offset:580 ; 4-byte Folded Spill
	;; [unrolled: 1-line block ×4, first 2 shown]
	v_mul_f64 v[117:118], v[73:74], v[228:229]
	s_waitcnt vmcnt(20)
	v_mul_f64 v[119:120], v[79:80], v[240:241]
	v_fma_f64 v[57:58], v[59:60], v[214:215], -v[121:122]
	v_fma_f64 v[59:60], v[61:62], v[194:195], v[123:124]
	buffer_store_dword v194, off, s[60:63], 0 offset:496 ; 4-byte Folded Spill
	buffer_store_dword v195, off, s[60:63], 0 offset:500 ; 4-byte Folded Spill
	;; [unrolled: 1-line block ×4, first 2 shown]
	s_waitcnt vmcnt(18)
	v_mul_f64 v[123:124], v[83:84], v[204:205]
	v_mul_f64 v[121:122], v[77:78], v[240:241]
	v_fma_f64 v[61:62], v[63:64], v[194:195], -v[127:128]
	v_fma_f64 v[63:64], v[65:66], v[222:223], v[69:70]
	buffer_store_dword v222, off, s[60:63], 0 offset:608 ; 4-byte Folded Spill
	buffer_store_dword v223, off, s[60:63], 0 offset:612 ; 4-byte Folded Spill
	;; [unrolled: 1-line block ×4, first 2 shown]
	global_load_dwordx4 v[148:151], v[0:1], off offset:1472
	v_mul_f64 v[127:128], v[81:82], v[204:205]
	v_fma_f64 v[65:66], v[67:68], v[222:223], -v[129:130]
	v_fma_f64 v[67:68], v[73:74], v[226:227], v[115:116]
	buffer_store_dword v226, off, s[60:63], 0 offset:624 ; 4-byte Folded Spill
	buffer_store_dword v227, off, s[60:63], 0 offset:628 ; 4-byte Folded Spill
	buffer_store_dword v228, off, s[60:63], 0 offset:632 ; 4-byte Folded Spill
	buffer_store_dword v229, off, s[60:63], 0 offset:636 ; 4-byte Folded Spill
	v_fma_f64 v[73:74], v[77:78], v[238:239], v[119:120]
	buffer_store_dword v238, off, s[60:63], 0 offset:672 ; 4-byte Folded Spill
	buffer_store_dword v239, off, s[60:63], 0 offset:676 ; 4-byte Folded Spill
	buffer_store_dword v240, off, s[60:63], 0 offset:680 ; 4-byte Folded Spill
	buffer_store_dword v241, off, s[60:63], 0 offset:684 ; 4-byte Folded Spill
	;; [unrolled: 5-line block ×3, first 2 shown]
	s_waitcnt vmcnt(16)
	v_mul_f64 v[115:116], v[87:88], v[220:221]
	s_waitcnt vmcnt(15)
	v_mul_f64 v[119:120], v[91:92], v[232:233]
	;; [unrolled: 2-line block ×3, first 2 shown]
	v_lshlrev_b32_e32 v205, 4, v71
	v_add_nc_u32_e32 v204, v6, v205
	v_fma_f64 v[81:82], v[85:86], v[218:219], v[115:116]
	s_waitcnt vmcnt(11)
	v_mul_f64 v[115:116], v[97:98], v[192:193]
	v_fma_f64 v[69:70], v[75:76], v[226:227], -v[117:118]
	v_mul_f64 v[117:118], v[85:86], v[220:221]
	buffer_store_dword v218, off, s[60:63], 0 offset:592 ; 4-byte Folded Spill
	buffer_store_dword v219, off, s[60:63], 0 offset:596 ; 4-byte Folded Spill
	;; [unrolled: 1-line block ×4, first 2 shown]
	v_fma_f64 v[75:76], v[79:80], v[238:239], -v[121:122]
	v_mul_f64 v[121:122], v[89:90], v[232:233]
	v_fma_f64 v[79:80], v[83:84], v[202:203], -v[127:128]
	v_mul_f64 v[127:128], v[93:94], v[212:213]
	global_load_dwordx4 v[131:134], v[4:5], off offset:400
	v_fma_f64 v[85:86], v[89:90], v[230:231], v[119:120]
	buffer_store_dword v230, off, s[60:63], 0 offset:640 ; 4-byte Folded Spill
	buffer_store_dword v231, off, s[60:63], 0 offset:644 ; 4-byte Folded Spill
	;; [unrolled: 1-line block ×4, first 2 shown]
	v_fma_f64 v[89:90], v[93:94], v[210:211], v[123:124]
	buffer_store_dword v210, off, s[60:63], 0 offset:560 ; 4-byte Folded Spill
	buffer_store_dword v211, off, s[60:63], 0 offset:564 ; 4-byte Folded Spill
	;; [unrolled: 1-line block ×4, first 2 shown]
	v_mul_f64 v[4:5], v[99:100], v[192:193]
	global_load_dwordx4 v[140:143], v[2:3], off offset:1072
	v_fma_f64 v[2:3], v[97:98], v[190:191], v[4:5]
	buffer_store_dword v190, off, s[60:63], 0 offset:480 ; 4-byte Folded Spill
	buffer_store_dword v191, off, s[60:63], 0 offset:484 ; 4-byte Folded Spill
	;; [unrolled: 1-line block ×4, first 2 shown]
	s_waitcnt vmcnt(9)
	v_mul_f64 v[97:98], v[107:108], v[208:209]
	v_fma_f64 v[97:98], v[105:106], v[206:207], v[97:98]
	v_fma_f64 v[83:84], v[87:88], v[218:219], -v[117:118]
	v_mul_f64 v[117:118], v[103:104], v[200:201]
	v_fma_f64 v[87:88], v[91:92], v[230:231], -v[121:122]
	v_fma_f64 v[91:92], v[95:96], v[210:211], -v[127:128]
	v_mul_f64 v[95:96], v[101:102], v[200:201]
	v_fma_f64 v[93:94], v[101:102], v[198:199], v[117:118]
	buffer_store_dword v198, off, s[60:63], 0 offset:512 ; 4-byte Folded Spill
	buffer_store_dword v199, off, s[60:63], 0 offset:516 ; 4-byte Folded Spill
	;; [unrolled: 1-line block ×4, first 2 shown]
	s_waitcnt vmcnt(7)
	v_mul_f64 v[117:118], v[109:110], v[236:237]
	v_fma_f64 v[4:5], v[99:100], v[190:191], -v[115:116]
	v_mul_f64 v[115:116], v[111:112], v[236:237]
	v_mul_f64 v[99:100], v[105:106], v[208:209]
	buffer_store_dword v206, off, s[60:63], 0 offset:544 ; 4-byte Folded Spill
	buffer_store_dword v207, off, s[60:63], 0 offset:548 ; 4-byte Folded Spill
	;; [unrolled: 1-line block ×4, first 2 shown]
	v_add_co_u32 v209, null, v185, 34
	v_fma_f64 v[105:106], v[109:110], v[234:235], v[115:116]
	v_fma_f64 v[95:96], v[103:104], v[198:199], -v[95:96]
	global_load_dwordx4 v[101:104], v[113:114], off
	buffer_store_dword v234, off, s[60:63], 0 offset:656 ; 4-byte Folded Spill
	buffer_store_dword v235, off, s[60:63], 0 offset:660 ; 4-byte Folded Spill
	;; [unrolled: 1-line block ×4, first 2 shown]
	v_fma_f64 v[99:100], v[107:108], v[206:207], -v[99:100]
	v_fma_f64 v[107:108], v[111:112], v[234:235], -v[117:118]
	s_clause 0x1
	global_load_dwordx4 v[115:118], v[0:1], off offset:112
	global_load_dwordx4 v[144:147], v[0:1], off offset:384
	s_waitcnt vmcnt(1)
	v_mul_f64 v[0:1], v[103:104], v[117:118]
	v_mul_f64 v[109:110], v[101:102], v[117:118]
	v_fma_f64 v[101:102], v[101:102], v[115:116], v[0:1]
	buffer_store_dword v115, off, s[60:63], 0 offset:800 ; 4-byte Folded Spill
	buffer_store_dword v116, off, s[60:63], 0 offset:804 ; 4-byte Folded Spill
	;; [unrolled: 1-line block ×4, first 2 shown]
	v_add_co_u32 v0, vcc_lo, v113, s6
	v_add_co_ci_u32_e32 v1, vcc_lo, s7, v114, vcc_lo
	v_fma_f64 v[103:104], v[103:104], v[115:116], -v[109:110]
	global_load_dwordx4 v[109:112], v[0:1], off
	v_add_co_u32 v0, vcc_lo, v0, s6
	v_add_co_ci_u32_e32 v1, vcc_lo, s7, v1, vcc_lo
	s_waitcnt vmcnt(0)
	v_mul_f64 v[113:114], v[111:112], v[150:151]
	v_mul_f64 v[115:116], v[109:110], v[150:151]
	v_fma_f64 v[109:110], v[109:110], v[148:149], v[113:114]
	buffer_store_dword v148, off, s[60:63], 0 offset:768 ; 4-byte Folded Spill
	buffer_store_dword v149, off, s[60:63], 0 offset:772 ; 4-byte Folded Spill
	buffer_store_dword v150, off, s[60:63], 0 offset:776 ; 4-byte Folded Spill
	buffer_store_dword v151, off, s[60:63], 0 offset:780 ; 4-byte Folded Spill
	v_fma_f64 v[111:112], v[111:112], v[148:149], -v[115:116]
	global_load_dwordx4 v[113:116], v[0:1], off
	v_add_co_u32 v0, vcc_lo, v0, s8
	v_add_co_ci_u32_e32 v1, vcc_lo, s9, v1, vcc_lo
	s_waitcnt vmcnt(0)
	v_mul_f64 v[117:118], v[115:116], v[138:139]
	v_mul_f64 v[119:120], v[113:114], v[138:139]
	v_fma_f64 v[113:114], v[113:114], v[136:137], v[117:118]
	buffer_store_dword v136, off, s[60:63], 0 offset:704 ; 4-byte Folded Spill
	buffer_store_dword v137, off, s[60:63], 0 offset:708 ; 4-byte Folded Spill
	buffer_store_dword v138, off, s[60:63], 0 offset:712 ; 4-byte Folded Spill
	buffer_store_dword v139, off, s[60:63], 0 offset:716 ; 4-byte Folded Spill
	;; [unrolled: 12-line block ×3, first 2 shown]
	v_fma_f64 v[119:120], v[119:120], v[180:181], -v[123:124]
	global_load_dwordx4 v[121:124], v[0:1], off
	v_add_co_u32 v0, vcc_lo, v0, s6
	v_add_co_ci_u32_e32 v1, vcc_lo, s7, v1, vcc_lo
	s_waitcnt vmcnt(0)
	v_mul_f64 v[127:128], v[123:124], v[133:134]
	v_mul_f64 v[129:130], v[121:122], v[133:134]
	v_fma_f64 v[121:122], v[121:122], v[131:132], v[127:128]
	v_mov_b32_e32 v127, v135
	buffer_store_dword v131, off, s[60:63], 0 offset:720 ; 4-byte Folded Spill
	buffer_store_dword v132, off, s[60:63], 0 offset:724 ; 4-byte Folded Spill
	;; [unrolled: 1-line block ×6, first 2 shown]
	ds_write_b128 v204, v[7:10]
	ds_write_b128 v204, v[11:14] offset:8704
	ds_write_b128 v204, v[15:18] offset:1360
	;; [unrolled: 1-line block ×3, first 2 shown]
	v_add_co_u32 v10, vcc_lo, v0, s6
	v_add_co_ci_u32_e32 v11, vcc_lo, s7, v1, vcc_lo
	global_load_dwordx4 v[6:9], v[0:1], off
	v_add_co_u32 v0, vcc_lo, v10, s6
	v_add_co_ci_u32_e32 v1, vcc_lo, s7, v11, vcc_lo
	global_load_dwordx4 v[10:13], v[10:11], off
	;; [unrolled: 3-line block ×3, first 2 shown]
	v_add_co_u32 v0, vcc_lo, v18, s6
	v_add_co_ci_u32_e32 v1, vcc_lo, s7, v19, vcc_lo
	ds_write_b128 v204, v[23:26] offset:4080
	ds_write_b128 v204, v[27:30] offset:5440
	;; [unrolled: 1-line block ×5, first 2 shown]
	global_load_dwordx4 v[18:21], v[18:19], off
	global_load_dwordx4 v[36:39], v[125:126], off offset:1056
	global_load_dwordx4 v[22:25], v[0:1], off
	ds_write_b128 v204, v[43:46] offset:1632
	ds_write_b128 v204, v[47:50] offset:2992
	;; [unrolled: 1-line block ×3, first 2 shown]
	s_mov_b32 s6, 0x37c3f68c
	s_mov_b32 s7, 0x3fdc38aa
	v_cmp_eq_u16_e32 vcc_lo, 0, v72
	v_fma_f64 v[123:124], v[123:124], v[131:132], -v[129:130]
	s_waitcnt vmcnt(5)
	v_mul_f64 v[0:1], v[8:9], v[188:189]
	v_mul_f64 v[26:27], v[6:7], v[188:189]
	s_waitcnt vmcnt(4)
	v_mul_f64 v[28:29], v[12:13], v[142:143]
	v_mul_f64 v[30:31], v[10:11], v[142:143]
	s_waitcnt vmcnt(3)
	v_mul_f64 v[32:33], v[16:17], v[146:147]
	s_waitcnt vmcnt(0)
	v_mul_f64 v[34:35], v[22:23], v[38:39]
	v_fma_f64 v[6:7], v[6:7], v[186:187], v[0:1]
	buffer_store_dword v186, off, s[60:63], 0 offset:464 ; 4-byte Folded Spill
	buffer_store_dword v187, off, s[60:63], 0 offset:468 ; 4-byte Folded Spill
	buffer_store_dword v188, off, s[60:63], 0 offset:472 ; 4-byte Folded Spill
	buffer_store_dword v189, off, s[60:63], 0 offset:476 ; 4-byte Folded Spill
	v_mul_f64 v[0:1], v[14:15], v[146:147]
	v_fma_f64 v[10:11], v[10:11], v[140:141], v[28:29]
	buffer_store_dword v140, off, s[60:63], 0 offset:736 ; 4-byte Folded Spill
	buffer_store_dword v141, off, s[60:63], 0 offset:740 ; 4-byte Folded Spill
	;; [unrolled: 1-line block ×4, first 2 shown]
	s_load_dwordx4 s[8:11], s[10:11], 0x0
	ds_write_b128 v204, v[55:58] offset:5712
	v_mul_f64 v[28:29], v[18:19], v[244:245]
	v_fma_f64 v[14:15], v[14:15], v[144:145], v[32:33]
	buffer_store_dword v144, off, s[60:63], 0 offset:752 ; 4-byte Folded Spill
	buffer_store_dword v145, off, s[60:63], 0 offset:756 ; 4-byte Folded Spill
	;; [unrolled: 1-line block ×4, first 2 shown]
	v_fma_f64 v[8:9], v[8:9], v[186:187], -v[26:27]
	v_mul_f64 v[26:27], v[20:21], v[244:245]
	v_fma_f64 v[12:13], v[12:13], v[140:141], -v[30:31]
	v_mul_f64 v[30:31], v[24:25], v[38:39]
	v_fma_f64 v[16:17], v[16:17], v[144:145], -v[0:1]
	v_fma_f64 v[18:19], v[18:19], v[242:243], v[26:27]
	buffer_store_dword v242, off, s[60:63], 0 offset:688 ; 4-byte Folded Spill
	buffer_store_dword v243, off, s[60:63], 0 offset:692 ; 4-byte Folded Spill
	buffer_store_dword v244, off, s[60:63], 0 offset:696 ; 4-byte Folded Spill
	buffer_store_dword v245, off, s[60:63], 0 offset:700 ; 4-byte Folded Spill
	v_fma_f64 v[22:23], v[22:23], v[36:37], v[30:31]
	buffer_store_dword v36, off, s[60:63], 0 offset:784 ; 4-byte Folded Spill
	buffer_store_dword v37, off, s[60:63], 0 offset:788 ; 4-byte Folded Spill
	;; [unrolled: 1-line block ×4, first 2 shown]
	v_fma_f64 v[20:21], v[20:21], v[242:243], -v[28:29]
	v_fma_f64 v[24:25], v[24:25], v[36:37], -v[34:35]
	ds_write_b128 v204, v[59:62] offset:7072
	ds_write_b128 v204, v[63:66] offset:8432
	;; [unrolled: 1-line block ×22, first 2 shown]
	s_waitcnt lgkmcnt(0)
	s_waitcnt_vscnt null, 0x0
	s_barrier
	buffer_gl0_inv
	ds_read_b128 v[0:3], v204 offset:1360
	ds_read_b128 v[4:7], v204 offset:6800
	;; [unrolled: 1-line block ×24, first 2 shown]
	s_waitcnt lgkmcnt(20)
	v_add_f64 v[97:98], v[0:1], v[16:17]
	v_add_f64 v[99:100], v[2:3], v[18:19]
	v_add_f64 v[16:17], v[0:1], -v[16:17]
	v_add_f64 v[18:19], v[2:3], -v[18:19]
	s_waitcnt lgkmcnt(18)
	v_add_f64 v[101:102], v[20:21], v[4:5]
	v_add_f64 v[103:104], v[22:23], v[6:7]
	v_add_f64 v[20:21], v[20:21], -v[4:5]
	v_add_f64 v[22:23], v[22:23], -v[6:7]
	ds_read_b128 v[0:3], v204 offset:2176
	ds_read_b128 v[4:7], v204 offset:2448
	s_waitcnt lgkmcnt(18)
	v_add_f64 v[105:106], v[8:9], v[36:37]
	v_add_f64 v[107:108], v[10:11], v[38:39]
	v_add_f64 v[36:37], v[36:37], -v[8:9]
	v_add_f64 v[38:39], v[38:39], -v[10:11]
	s_waitcnt lgkmcnt(16)
	v_add_f64 v[109:110], v[40:41], v[12:13]
	v_add_f64 v[111:112], v[42:43], v[14:15]
	v_add_f64 v[40:41], v[40:41], -v[12:13]
	v_add_f64 v[42:43], v[42:43], -v[14:15]
	s_waitcnt lgkmcnt(6)
	v_add_f64 v[135:136], v[54:55], v[79:80]
	v_add_f64 v[79:80], v[79:80], -v[54:55]
	v_add_f64 v[121:122], v[32:33], v[64:65]
	v_add_f64 v[125:126], v[32:33], -v[64:65]
	;; [unrolled: 2-line block ×5, first 2 shown]
	s_waitcnt lgkmcnt(1)
	v_add_f64 v[137:138], v[0:1], v[56:57]
	v_add_f64 v[139:140], v[2:3], v[58:59]
	v_add_f64 v[141:142], v[0:1], -v[56:57]
	v_add_f64 v[143:144], v[2:3], -v[58:59]
	ds_read_b128 v[0:3], v204 offset:7616
	ds_read_b128 v[8:11], v204 offset:7888
	v_add_f64 v[68:69], v[105:106], -v[101:102]
	v_add_f64 v[54:55], v[36:37], -v[20:21]
	v_add_f64 v[52:53], v[36:37], v[20:21]
	v_add_f64 v[20:21], v[20:21], -v[16:17]
	v_add_f64 v[56:57], v[38:39], v[22:23]
	;; [unrolled: 2-line block ×5, first 2 shown]
	v_add_f64 v[131:132], v[70:71], -v[50:51]
	v_add_f64 v[60:61], v[101:102], -v[97:98]
	;; [unrolled: 1-line block ×4, first 2 shown]
	v_add_f64 v[115:116], v[26:27], v[46:47]
	v_add_f64 v[26:27], v[26:27], -v[46:47]
	v_add_f64 v[119:120], v[62:63], v[30:31]
	s_waitcnt lgkmcnt(1)
	v_add_f64 v[145:146], v[73:74], v[0:1]
	v_add_f64 v[147:148], v[75:76], v[2:3]
	v_add_f64 v[149:150], v[73:74], -v[0:1]
	v_add_f64 v[151:152], v[75:76], -v[2:3]
	ds_read_b128 v[0:3], v204 offset:4896
	ds_read_b128 v[12:15], v204 offset:5168
	s_waitcnt lgkmcnt(2)
	v_add_f64 v[169:170], v[85:86], v[8:9]
	v_add_f64 v[173:174], v[85:86], -v[8:9]
	v_mul_f64 v[85:86], v[54:55], s[24:25]
	v_add_f64 v[171:172], v[87:88], v[10:11]
	v_add_f64 v[175:176], v[87:88], -v[10:11]
	v_add_f64 v[73:74], v[52:53], v[16:17]
	v_add_f64 v[75:76], v[56:57], v[18:19]
	v_mul_f64 v[87:88], v[58:59], s[24:25]
	v_mul_f64 v[52:53], v[68:69], s[12:13]
	v_add_f64 v[30:31], v[30:31], -v[62:63]
	v_add_f64 v[62:63], v[103:104], -v[99:100]
	;; [unrolled: 1-line block ×3, first 2 shown]
	v_mul_f64 v[54:55], v[70:71], s[12:13]
	v_add_f64 v[18:19], v[18:19], -v[38:39]
	s_waitcnt lgkmcnt(1)
	v_add_f64 v[153:154], v[0:1], v[81:82]
	v_add_f64 v[155:156], v[2:3], v[83:84]
	v_add_f64 v[157:158], v[81:82], -v[0:1]
	v_add_f64 v[159:160], v[83:84], -v[2:3]
	ds_read_b128 v[0:3], v204 offset:9248
	s_waitcnt lgkmcnt(1)
	v_add_f64 v[177:178], v[12:13], v[89:90]
	v_fma_f64 v[56:57], v[20:21], s[14:15], -v[85:86]
	v_mul_f64 v[20:21], v[20:21], s[14:15]
	v_add_f64 v[181:182], v[89:90], -v[12:13]
	v_add_f64 v[179:180], v[14:15], v[91:92]
	v_add_f64 v[183:184], v[91:92], -v[14:15]
	v_fma_f64 v[52:53], v[60:61], s[26:27], -v[52:53]
	v_fma_f64 v[54:55], v[62:63], s[26:27], -v[54:55]
	s_waitcnt lgkmcnt(0)
	v_add_f64 v[161:162], v[4:5], v[0:1]
	v_add_f64 v[165:166], v[4:5], -v[0:1]
	v_add_f64 v[0:1], v[101:102], v[97:98]
	v_add_f64 v[163:164], v[6:7], v[2:3]
	v_add_f64 v[167:168], v[6:7], -v[2:3]
	v_fma_f64 v[58:59], v[73:74], s[6:7], v[56:57]
	v_fma_f64 v[56:57], v[22:23], s[14:15], -v[87:88]
	v_mul_f64 v[22:23], v[22:23], s[14:15]
	v_fma_f64 v[20:21], v[16:17], s[22:23], -v[20:21]
	v_fma_f64 v[16:17], v[16:17], s[16:17], v[85:86]
	v_add_f64 v[8:9], v[105:106], v[0:1]
	v_add_f64 v[0:1], v[103:104], v[99:100]
	v_fma_f64 v[56:57], v[75:76], s[6:7], v[56:57]
	v_fma_f64 v[22:23], v[18:19], s[22:23], -v[22:23]
	v_fma_f64 v[20:21], v[73:74], s[6:7], v[20:21]
	v_fma_f64 v[18:19], v[18:19], s[16:17], v[87:88]
	;; [unrolled: 1-line block ×3, first 2 shown]
	v_add_f64 v[10:11], v[107:108], v[0:1]
	ds_read_b128 v[0:3], v204
	ds_read_b128 v[4:7], v204 offset:272
	v_fma_f64 v[22:23], v[75:76], s[6:7], v[22:23]
	v_fma_f64 v[18:19], v[75:76], s[6:7], v[18:19]
	s_waitcnt lgkmcnt(1)
	v_add_f64 v[44:45], v[0:1], v[8:9]
	v_add_f64 v[0:1], v[113:114], v[109:110]
	;; [unrolled: 1-line block ×3, first 2 shown]
	v_fma_f64 v[8:9], v[8:9], s[28:29], v[44:45]
	v_add_f64 v[12:13], v[117:118], v[0:1]
	v_fma_f64 v[10:11], v[10:11], s[28:29], v[46:47]
	v_add_f64 v[0:1], v[115:116], v[111:112]
	v_add_f64 v[64:65], v[52:53], v[8:9]
	s_waitcnt lgkmcnt(0)
	v_add_f64 v[4:5], v[4:5], v[12:13]
	v_add_f64 v[66:67], v[54:55], v[10:11]
	;; [unrolled: 1-line block ×4, first 2 shown]
	v_add_f64 v[52:53], v[64:65], -v[56:57]
	v_add_f64 v[56:57], v[64:65], v[56:57]
	v_add_f64 v[64:65], v[97:98], -v[105:106]
	v_add_f64 v[54:55], v[58:59], v[66:67]
	v_add_f64 v[58:59], v[66:67], -v[58:59]
	v_add_f64 v[66:67], v[99:100], -v[107:108]
	v_fma_f64 v[91:92], v[12:13], s[28:29], v[4:5]
	v_add_f64 v[6:7], v[6:7], v[14:15]
	v_add_f64 v[81:82], v[133:134], v[0:1]
	;; [unrolled: 1-line block ×3, first 2 shown]
	v_mul_f64 v[36:37], v[64:65], s[18:19]
	v_mul_f64 v[38:39], v[66:67], s[18:19]
	v_fma_f64 v[97:98], v[14:15], s[28:29], v[6:7]
	v_add_f64 v[83:84], v[135:136], v[0:1]
	ds_read_b128 v[0:3], v204 offset:544
	ds_read_b128 v[48:51], v204 offset:816
	s_waitcnt lgkmcnt(0)
	s_barrier
	buffer_gl0_inv
	v_fma_f64 v[60:61], v[60:61], s[20:21], -v[36:37]
	v_fma_f64 v[62:63], v[62:63], s[20:21], -v[38:39]
	v_add_f64 v[0:1], v[0:1], v[81:82]
	v_add_f64 v[2:3], v[2:3], v[83:84]
	;; [unrolled: 1-line block ×4, first 2 shown]
	v_fma_f64 v[81:82], v[81:82], s[28:29], v[0:1]
	v_fma_f64 v[83:84], v[83:84], s[28:29], v[2:3]
	v_add_f64 v[60:61], v[64:65], v[22:23]
	v_add_f64 v[64:65], v[64:65], -v[22:23]
	v_fma_f64 v[22:23], v[70:71], s[12:13], v[38:39]
	v_add_f64 v[62:63], v[66:67], -v[20:21]
	v_add_f64 v[66:67], v[20:21], v[66:67]
	v_fma_f64 v[20:21], v[68:69], s[12:13], v[36:37]
	v_add_f64 v[36:37], v[117:118], -v[113:114]
	v_add_f64 v[38:39], v[119:120], -v[115:116]
	v_add_f64 v[10:11], v[22:23], v[10:11]
	v_add_f64 v[22:23], v[30:31], v[26:27]
	;; [unrolled: 1-line block ×3, first 2 shown]
	v_add_f64 v[20:21], v[24:25], -v[40:41]
	v_add_f64 v[70:71], v[10:11], -v[16:17]
	v_add_f64 v[75:76], v[16:17], v[10:11]
	v_add_f64 v[10:11], v[28:29], -v[24:25]
	v_add_f64 v[68:69], v[8:9], v[18:19]
	;; [unrolled: 2-line block ×3, first 2 shown]
	v_add_f64 v[24:25], v[30:31], -v[26:27]
	v_add_f64 v[16:17], v[113:114], -v[109:110]
	;; [unrolled: 1-line block ×3, first 2 shown]
	v_add_f64 v[87:88], v[22:23], v[42:43]
	v_add_f64 v[18:19], v[115:116], -v[111:112]
	v_add_f64 v[28:29], v[40:41], -v[28:29]
	;; [unrolled: 1-line block ×3, first 2 shown]
	v_mul_f64 v[89:90], v[10:11], s[24:25]
	v_mul_f64 v[10:11], v[38:39], s[12:13]
	v_add_f64 v[85:86], v[8:9], v[40:41]
	v_mul_f64 v[24:25], v[24:25], s[24:25]
	v_mul_f64 v[8:9], v[36:37], s[12:13]
	v_fma_f64 v[12:13], v[20:21], s[14:15], -v[89:90]
	v_fma_f64 v[10:11], v[18:19], s[26:27], -v[10:11]
	v_mul_f64 v[20:21], v[20:21], s[14:15]
	v_fma_f64 v[8:9], v[16:17], s[26:27], -v[8:9]
	v_fma_f64 v[22:23], v[85:86], s[6:7], v[12:13]
	v_fma_f64 v[12:13], v[26:27], s[14:15], -v[24:25]
	v_add_f64 v[10:11], v[10:11], v[97:98]
	v_mul_f64 v[26:27], v[26:27], s[14:15]
	v_fma_f64 v[20:21], v[28:29], s[22:23], -v[20:21]
	v_add_f64 v[8:9], v[8:9], v[91:92]
	v_fma_f64 v[24:25], v[30:31], s[16:17], v[24:25]
	v_fma_f64 v[99:100], v[87:88], s[6:7], v[12:13]
	v_add_f64 v[14:15], v[22:23], v[10:11]
	v_add_f64 v[10:11], v[10:11], -v[22:23]
	v_add_f64 v[22:23], v[109:110], -v[117:118]
	;; [unrolled: 1-line block ×3, first 2 shown]
	v_fma_f64 v[24:25], v[87:88], s[6:7], v[24:25]
	v_add_f64 v[116:117], v[155:156], -v[147:148]
	v_add_f64 v[12:13], v[8:9], -v[99:100]
	v_add_f64 v[8:9], v[8:9], v[99:100]
	v_add_f64 v[99:100], v[111:112], -v[119:120]
	v_mul_f64 v[40:41], v[22:23], s[18:19]
	v_fma_f64 v[22:23], v[30:31], s[22:23], -v[26:27]
	v_fma_f64 v[26:27], v[85:86], s[6:7], v[20:21]
	v_add_f64 v[111:112], v[127:128], -v[79:80]
	v_mul_f64 v[42:43], v[99:100], s[18:19]
	v_fma_f64 v[16:17], v[16:17], s[20:21], -v[40:41]
	v_fma_f64 v[99:100], v[87:88], s[6:7], v[22:23]
	v_add_f64 v[87:88], v[135:136], -v[34:35]
	v_fma_f64 v[18:19], v[18:19], s[20:21], -v[42:43]
	v_fma_f64 v[30:31], v[38:39], s[12:13], v[42:43]
	v_add_f64 v[42:43], v[34:35], -v[123:124]
	v_add_f64 v[34:35], v[77:78], -v[129:130]
	v_add_f64 v[16:17], v[16:17], v[91:92]
	v_add_f64 v[18:19], v[18:19], v[97:98]
	;; [unrolled: 1-line block ×3, first 2 shown]
	v_mul_f64 v[101:102], v[34:35], s[24:25]
	v_mul_f64 v[34:35], v[87:88], s[12:13]
	v_add_f64 v[20:21], v[16:17], v[99:100]
	v_add_f64 v[16:17], v[16:17], -v[99:100]
	v_add_f64 v[22:23], v[18:19], -v[26:27]
	v_add_f64 v[18:19], v[26:27], v[18:19]
	v_fma_f64 v[26:27], v[28:29], s[16:17], v[89:90]
	v_fma_f64 v[28:29], v[36:37], s[12:13], v[40:41]
	v_add_f64 v[40:41], v[32:33], -v[121:122]
	v_add_f64 v[89:90], v[129:130], -v[125:126]
	v_fma_f64 v[34:35], v[42:43], s[26:27], -v[34:35]
	v_fma_f64 v[26:27], v[85:86], s[6:7], v[26:27]
	v_add_f64 v[36:37], v[28:29], v[91:92]
	v_add_f64 v[85:86], v[133:134], -v[32:33]
	v_add_f64 v[32:33], v[77:78], v[129:130]
	v_add_f64 v[91:92], v[131:132], -v[127:128]
	v_add_f64 v[34:35], v[34:35], v[83:84]
	v_mul_f64 v[77:78], v[89:90], s[14:15]
	v_add_f64 v[30:31], v[38:39], -v[26:27]
	v_add_f64 v[28:29], v[36:37], v[24:25]
	v_add_f64 v[24:25], v[36:37], -v[24:25]
	v_add_f64 v[36:37], v[79:80], v[131:132]
	v_add_f64 v[26:27], v[26:27], v[38:39]
	v_add_f64 v[38:39], v[79:80], -v[131:132]
	v_add_f64 v[97:98], v[32:33], v[125:126]
	v_mul_f64 v[32:33], v[85:86], s[12:13]
	v_mul_f64 v[79:80], v[91:92], s[14:15]
	v_fma_f64 v[77:78], v[109:110], s[22:23], -v[77:78]
	v_add_f64 v[130:131], v[141:142], -v[157:158]
	v_add_f64 v[99:100], v[36:37], v[127:128]
	v_fma_f64 v[36:37], v[89:90], s[14:15], -v[101:102]
	v_mul_f64 v[103:104], v[38:39], s[24:25]
	v_fma_f64 v[101:102], v[109:110], s[16:17], v[101:102]
	v_fma_f64 v[32:33], v[40:41], s[26:27], -v[32:33]
	v_fma_f64 v[79:80], v[111:112], s[22:23], -v[79:80]
	v_fma_f64 v[105:106], v[97:98], s[6:7], v[36:37]
	v_fma_f64 v[36:37], v[91:92], s[14:15], -v[103:104]
	v_fma_f64 v[103:104], v[111:112], s[16:17], v[103:104]
	v_add_f64 v[32:33], v[32:33], v[81:82]
	v_add_f64 v[110:111], v[157:158], -v[149:150]
	v_add_f64 v[112:113], v[149:150], -v[141:142]
	v_add_f64 v[38:39], v[105:106], v[34:35]
	v_add_f64 v[34:35], v[34:35], -v[105:106]
	v_add_f64 v[105:106], v[121:122], -v[133:134]
	v_fma_f64 v[107:108], v[99:100], s[6:7], v[36:37]
	v_mul_f64 v[128:129], v[110:111], s[24:25]
	v_add_f64 v[132:133], v[143:144], -v[159:160]
	v_mul_f64 v[89:90], v[105:106], s[18:19]
	v_add_f64 v[36:37], v[32:33], -v[107:108]
	v_add_f64 v[32:33], v[32:33], v[107:108]
	v_add_f64 v[107:108], v[123:124], -v[135:136]
	v_fma_f64 v[105:106], v[97:98], s[6:7], v[77:78]
	v_fma_f64 v[85:86], v[85:86], s[12:13], v[89:90]
	v_fma_f64 v[40:41], v[40:41], s[20:21], -v[89:90]
	v_fma_f64 v[89:90], v[99:100], s[6:7], v[103:104]
	v_mul_f64 v[91:92], v[107:108], s[18:19]
	v_fma_f64 v[107:108], v[99:100], s[6:7], v[79:80]
	v_add_f64 v[99:100], v[153:154], -v[145:146]
	v_add_f64 v[103:104], v[159:160], -v[151:152]
	v_add_f64 v[85:86], v[85:86], v[81:82]
	v_add_f64 v[40:41], v[40:41], v[81:82]
	v_fma_f64 v[87:88], v[87:88], s[12:13], v[91:92]
	v_fma_f64 v[42:43], v[42:43], s[20:21], -v[91:92]
	v_fma_f64 v[91:92], v[97:98], s[6:7], v[101:102]
	v_add_f64 v[97:98], v[145:146], -v[137:138]
	v_mul_f64 v[118:119], v[103:104], s[24:25]
	v_add_f64 v[103:104], v[157:158], v[149:150]
	v_add_f64 v[101:102], v[147:148], -v[139:140]
	v_add_f64 v[81:82], v[85:86], v[89:90]
	v_add_f64 v[85:86], v[85:86], -v[89:90]
	v_add_f64 v[89:90], v[145:146], v[137:138]
	v_add_f64 v[87:88], v[87:88], v[83:84]
	;; [unrolled: 1-line block ×4, first 2 shown]
	v_add_f64 v[40:41], v[40:41], -v[107:108]
	v_add_f64 v[108:109], v[151:152], -v[143:144]
	v_add_f64 v[124:125], v[103:104], v[141:142]
	v_add_f64 v[89:90], v[153:154], v[89:90]
	v_add_f64 v[83:84], v[87:88], -v[91:92]
	v_add_f64 v[87:88], v[91:92], v[87:88]
	v_add_f64 v[91:92], v[147:148], v[139:140]
	;; [unrolled: 3-line block ×3, first 2 shown]
	v_add_f64 v[48:49], v[48:49], v[89:90]
	v_add_f64 v[91:92], v[155:156], v[91:92]
	v_add_f64 v[126:127], v[105:106], v[143:144]
	v_add_f64 v[142:143], v[179:180], -v[171:172]
	v_fma_f64 v[120:121], v[89:90], s[28:29], v[48:49]
	v_mul_f64 v[89:90], v[99:100], s[12:13]
	v_add_f64 v[50:51], v[50:51], v[91:92]
	v_fma_f64 v[89:90], v[97:98], s[26:27], -v[89:90]
	v_fma_f64 v[122:123], v[91:92], s[28:29], v[50:51]
	v_mul_f64 v[91:92], v[116:117], s[12:13]
	v_add_f64 v[103:104], v[89:90], v[120:121]
	v_fma_f64 v[89:90], v[108:109], s[14:15], -v[118:119]
	v_mul_f64 v[108:109], v[108:109], s[14:15]
	v_fma_f64 v[91:92], v[101:102], s[26:27], -v[91:92]
	v_fma_f64 v[110:111], v[126:127], s[6:7], v[89:90]
	v_fma_f64 v[89:90], v[112:113], s[14:15], -v[128:129]
	v_add_f64 v[106:107], v[91:92], v[122:123]
	v_fma_f64 v[108:109], v[132:133], s[22:23], -v[108:109]
	v_fma_f64 v[114:115], v[124:125], s[6:7], v[89:90]
	v_add_f64 v[89:90], v[103:104], -v[110:111]
	v_add_f64 v[104:105], v[103:104], v[110:111]
	v_add_f64 v[110:111], v[137:138], -v[153:154]
	v_add_f64 v[91:92], v[114:115], v[106:107]
	v_add_f64 v[106:107], v[106:107], -v[114:115]
	v_add_f64 v[114:115], v[139:140], -v[155:156]
	v_mul_f64 v[134:135], v[110:111], s[18:19]
	v_mul_f64 v[110:111], v[112:113], s[14:15]
	v_fma_f64 v[112:113], v[126:127], s[6:7], v[108:109]
	v_add_f64 v[140:141], v[177:178], -v[169:170]
	v_add_f64 v[138:139], v[173:174], -v[165:166]
	;; [unrolled: 1-line block ×4, first 2 shown]
	v_mul_f64 v[136:137], v[114:115], s[18:19]
	v_fma_f64 v[97:98], v[97:98], s[20:21], -v[134:135]
	v_fma_f64 v[110:111], v[130:131], s[22:23], -v[110:111]
	;; [unrolled: 1-line block ×3, first 2 shown]
	v_add_f64 v[97:98], v[97:98], v[120:121]
	v_fma_f64 v[114:115], v[124:125], s[6:7], v[110:111]
	v_add_f64 v[101:102], v[101:102], v[122:123]
	v_add_f64 v[108:109], v[97:98], v[112:113]
	v_add_f64 v[112:113], v[97:98], -v[112:113]
	v_fma_f64 v[97:98], v[99:100], s[12:13], v[134:135]
	v_fma_f64 v[99:100], v[116:117], s[12:13], v[136:137]
	;; [unrolled: 1-line block ×3, first 2 shown]
	v_add_f64 v[134:135], v[175:176], -v[167:168]
	v_mul_f64 v[128:129], v[142:143], s[12:13]
	v_add_f64 v[130:131], v[181:182], v[173:174]
	v_add_f64 v[136:137], v[181:182], -v[173:174]
	v_add_f64 v[110:111], v[101:102], -v[114:115]
	v_add_f64 v[114:115], v[114:115], v[101:102]
	v_fma_f64 v[101:102], v[132:133], s[16:17], v[118:119]
	v_add_f64 v[97:98], v[97:98], v[120:121]
	v_add_f64 v[99:100], v[99:100], v[122:123]
	v_fma_f64 v[122:123], v[124:125], s[6:7], v[116:117]
	v_add_f64 v[124:125], v[183:184], -v[175:176]
	v_add_f64 v[132:133], v[171:172], -v[163:164]
	v_add_f64 v[146:147], v[130:131], v[165:166]
	v_mul_f64 v[150:151], v[136:137], s[24:25]
	v_fma_f64 v[101:102], v[126:127], s[6:7], v[101:102]
	v_add_f64 v[126:127], v[183:184], v[175:176]
	v_add_f64 v[118:119], v[99:100], -v[122:123]
	v_add_f64 v[122:123], v[122:123], v[99:100]
	v_add_f64 v[99:100], v[171:172], v[163:164]
	v_mul_f64 v[144:145], v[124:125], s[24:25]
	v_mul_f64 v[124:125], v[140:141], s[12:13]
	v_fma_f64 v[128:129], v[132:133], s[26:27], -v[128:129]
	v_add_f64 v[116:117], v[97:98], v[101:102]
	v_add_f64 v[120:121], v[97:98], -v[101:102]
	v_add_f64 v[97:98], v[169:170], v[161:162]
	v_add_f64 v[101:102], v[169:170], -v[161:162]
	v_add_f64 v[148:149], v[126:127], v[167:168]
	v_add_f64 v[99:100], v[179:180], v[99:100]
	;; [unrolled: 1-line block ×3, first 2 shown]
	v_fma_f64 v[124:125], v[101:102], s[26:27], -v[124:125]
	v_add_f64 v[95:96], v[95:96], v[99:100]
	v_add_f64 v[93:94], v[93:94], v[97:98]
	v_fma_f64 v[99:100], v[99:100], s[28:29], v[95:96]
	v_fma_f64 v[97:98], v[97:98], s[28:29], v[93:94]
	v_add_f64 v[136:137], v[128:129], v[99:100]
	v_add_f64 v[130:131], v[124:125], v[97:98]
	v_fma_f64 v[124:125], v[134:135], s[14:15], -v[144:145]
	v_mul_f64 v[134:135], v[134:135], s[14:15]
	v_fma_f64 v[128:129], v[148:149], s[6:7], v[124:125]
	v_fma_f64 v[124:125], v[138:139], s[14:15], -v[150:151]
	v_fma_f64 v[134:135], v[156:157], s[22:23], -v[134:135]
	v_fma_f64 v[152:153], v[146:147], s[6:7], v[124:125]
	v_add_f64 v[124:125], v[130:131], -v[128:129]
	v_add_f64 v[128:129], v[130:131], v[128:129]
	v_add_f64 v[126:127], v[152:153], v[136:137]
	v_add_f64 v[130:131], v[136:137], -v[152:153]
	v_add_f64 v[136:137], v[161:162], -v[177:178]
	;; [unrolled: 1-line block ×3, first 2 shown]
	v_fma_f64 v[160:161], v[148:149], s[6:7], v[134:135]
	v_mul_f64 v[158:159], v[136:137], s[18:19]
	v_mul_f64 v[152:153], v[152:153], s[18:19]
	;; [unrolled: 1-line block ×3, first 2 shown]
	v_fma_f64 v[101:102], v[101:102], s[20:21], -v[158:159]
	v_fma_f64 v[132:133], v[132:133], s[20:21], -v[152:153]
	;; [unrolled: 1-line block ×3, first 2 shown]
	v_add_f64 v[101:102], v[101:102], v[97:98]
	v_add_f64 v[138:139], v[132:133], v[99:100]
	v_fma_f64 v[162:163], v[146:147], s[6:7], v[136:137]
	v_add_f64 v[132:133], v[101:102], v[160:161]
	v_add_f64 v[136:137], v[101:102], -v[160:161]
	v_fma_f64 v[101:102], v[140:141], s[12:13], v[158:159]
	v_fma_f64 v[140:141], v[142:143], s[12:13], v[152:153]
	;; [unrolled: 1-line block ×4, first 2 shown]
	v_add_f64 v[134:135], v[138:139], -v[162:163]
	v_add_f64 v[138:139], v[162:163], v[138:139]
	v_add_f64 v[97:98], v[101:102], v[97:98]
	;; [unrolled: 1-line block ×3, first 2 shown]
	v_fma_f64 v[99:100], v[148:149], s[6:7], v[142:143]
	v_fma_f64 v[144:145], v[146:147], s[6:7], v[144:145]
	v_add_co_u32 v208, s6, v185, 17
	v_add_f64 v[140:141], v[97:98], v[99:100]
	v_add_f64 v[100:101], v[97:98], -v[99:100]
	v_mul_lo_u16 v97, v72, 7
	v_add_f64 v[142:143], v[102:103], -v[144:145]
	v_add_f64 v[102:103], v[144:145], v[102:103]
	v_and_b32_e32 v97, 0xffff, v97
	v_lshl_add_u32 v97, v97, 4, v205
	ds_write_b128 v97, v[44:47]
	ds_write_b128 v97, v[68:71] offset:16
	ds_write_b128 v97, v[60:63] offset:32
	;; [unrolled: 1-line block ×5, first 2 shown]
	v_add_co_ci_u32_e64 v44, null, 0, 0, s6
	v_mul_u32_u24_e32 v44, 7, v208
	buffer_store_dword v97, off, s[60:63], 0 offset:896 ; 4-byte Folded Spill
	ds_write_b128 v97, v[73:76] offset:96
                                        ; implicit-def: $vgpr56_vgpr57
                                        ; implicit-def: $vgpr60_vgpr61
                                        ; implicit-def: $vgpr64_vgpr65
                                        ; implicit-def: $vgpr52_vgpr53
	v_lshl_add_u32 v44, v44, 4, v205
	ds_write_b128 v44, v[4:7]
	ds_write_b128 v44, v[28:31] offset:16
	ds_write_b128 v44, v[20:23] offset:32
	v_mul_u32_u24_e32 v4, 7, v209
	v_add_co_u32 v5, null, v185, 51
	ds_write_b128 v44, v[12:15] offset:48
	ds_write_b128 v44, v[8:11] offset:64
	v_lshl_add_u32 v4, v4, 4, v205
	ds_write_b128 v44, v[16:19] offset:80
	buffer_store_dword v44, off, s[60:63], 0 offset:1284 ; 4-byte Folded Spill
	ds_write_b128 v44, v[24:27] offset:96
	ds_write_b128 v4, v[0:3]
	ds_write_b128 v4, v[81:84] offset:16
	v_mul_u32_u24_e32 v0, 7, v5
	v_add_co_u32 v1, null, 0x44, v185
	buffer_store_dword v5, off, s[60:63], 0 offset:1424 ; 4-byte Folded Spill
	ds_write_b128 v4, v[77:80] offset:32
	v_lshl_add_u32 v2, v0, 4, v205
	v_mul_u32_u24_e32 v0, 7, v1
	buffer_store_dword v185, off, s[60:63], 0 ; 4-byte Folded Spill
	ds_write_b128 v4, v[36:39] offset:48
	ds_write_b128 v4, v[32:35] offset:64
	;; [unrolled: 1-line block ×3, first 2 shown]
	buffer_store_dword v1, off, s[60:63], 0 offset:1108 ; 4-byte Folded Spill
	v_lshl_add_u32 v1, v0, 4, v205
	buffer_store_dword v4, off, s[60:63], 0 offset:1248 ; 4-byte Folded Spill
	ds_write_b128 v4, v[85:88] offset:96
	ds_write_b128 v2, v[48:51]
	ds_write_b128 v2, v[116:119] offset:16
	ds_write_b128 v2, v[108:111] offset:32
	;; [unrolled: 1-line block ×5, first 2 shown]
	buffer_store_dword v2, off, s[60:63], 0 offset:1212 ; 4-byte Folded Spill
	ds_write_b128 v2, v[120:123] offset:96
	ds_write_b128 v1, v[93:96]
	ds_write_b128 v1, v[140:143] offset:16
	ds_write_b128 v1, v[132:135] offset:32
	;; [unrolled: 1-line block ×5, first 2 shown]
	buffer_store_dword v1, off, s[60:63], 0 offset:1208 ; 4-byte Folded Spill
	ds_write_b128 v1, v[100:103] offset:96
	s_waitcnt lgkmcnt(0)
	s_waitcnt_vscnt null, 0x0
	s_barrier
	buffer_gl0_inv
	ds_read_b128 v[0:3], v204
	ds_read_b128 v[76:79], v204 offset:272
	ds_read_b128 v[200:203], v204 offset:560
	;; [unrolled: 1-line block ×33, first 2 shown]
                                        ; implicit-def: $vgpr48_vgpr49
                                        ; implicit-def: $vgpr32_vgpr33
                                        ; implicit-def: $vgpr40_vgpr41
                                        ; implicit-def: $vgpr44_vgpr45
                                        ; implicit-def: $vgpr16_vgpr17
                                        ; implicit-def: $vgpr24_vgpr25
                                        ; implicit-def: $vgpr28_vgpr29
                                        ; implicit-def: $vgpr36_vgpr37
                                        ; implicit-def: $vgpr4_vgpr5
                                        ; implicit-def: $vgpr8_vgpr9
                                        ; implicit-def: $vgpr12_vgpr13
                                        ; implicit-def: $vgpr20_vgpr21
	s_and_saveexec_b32 s6, vcc_lo
	s_cbranch_execz .LBB0_3
; %bb.2:
	ds_read_b128 v[100:103], v205 offset:544
	ds_read_b128 v[48:51], v205 offset:1104
	;; [unrolled: 1-line block ×17, first 2 shown]
.LBB0_3:
	s_or_b32 exec_lo, exec_lo, s6
	buffer_load_dword v210, off, s[60:63], 0 ; 4-byte Folded Reload
	v_mov_b32_e32 v212, 8
	s_mov_b32 s50, 0x7c9e640b
	s_mov_b32 s51, 0xbfeca52d
	;; [unrolled: 1-line block ×48, first 2 shown]
	s_waitcnt vmcnt(0)
	v_and_b32_e32 v206, 0xff, v210
	v_mul_lo_u16 v206, v206, 37
	v_lshrrev_b16 v206, 8, v206
	v_sub_nc_u16 v207, v210, v206
	v_lshrrev_b16 v207, 1, v207
	v_and_b32_e32 v207, 0x7f, v207
	v_add_nc_u16 v206, v207, v206
	v_lshrrev_b16 v206, 2, v206
	v_mul_lo_u16 v207, v206, 7
	v_sub_nc_u16 v207, v210, v207
	v_lshlrev_b32_sdwa v213, v212, v207 dst_sel:DWORD dst_unused:UNUSED_PAD src0_sel:DWORD src1_sel:BYTE_0
	s_clause 0x3
	global_load_dwordx4 v[214:217], v213, s[2:3] offset:48
	global_load_dwordx4 v[218:221], v213, s[2:3] offset:32
	;; [unrolled: 1-line block ×3, first 2 shown]
	global_load_dwordx4 v[226:229], v213, s[2:3]
	s_waitcnt vmcnt(0) lgkmcnt(31)
	v_mul_f64 v[210:211], v[202:203], v[228:229]
	v_fma_f64 v[242:243], v[200:201], v[226:227], -v[210:211]
	v_mul_f64 v[200:201], v[200:201], v[228:229]
	buffer_store_dword v226, off, s[60:63], 0 offset:1192 ; 4-byte Folded Spill
	buffer_store_dword v227, off, s[60:63], 0 offset:1196 ; 4-byte Folded Spill
	buffer_store_dword v228, off, s[60:63], 0 offset:1200 ; 4-byte Folded Spill
	buffer_store_dword v229, off, s[60:63], 0 offset:1204 ; 4-byte Folded Spill
	v_fma_f64 v[244:245], v[202:203], v[226:227], v[200:201]
	s_waitcnt lgkmcnt(29)
	v_mul_f64 v[200:201], v[198:199], v[224:225]
	v_fma_f64 v[236:237], v[196:197], v[222:223], -v[200:201]
	v_mul_f64 v[196:197], v[196:197], v[224:225]
	buffer_store_dword v222, off, s[60:63], 0 offset:1128 ; 4-byte Folded Spill
	buffer_store_dword v223, off, s[60:63], 0 offset:1132 ; 4-byte Folded Spill
	buffer_store_dword v224, off, s[60:63], 0 offset:1136 ; 4-byte Folded Spill
	buffer_store_dword v225, off, s[60:63], 0 offset:1140 ; 4-byte Folded Spill
	v_fma_f64 v[234:235], v[198:199], v[222:223], v[196:197]
	s_waitcnt lgkmcnt(27)
	v_mul_f64 v[196:197], v[194:195], v[220:221]
	v_fma_f64 v[232:233], v[192:193], v[218:219], -v[196:197]
	v_mul_f64 v[192:193], v[192:193], v[220:221]
	buffer_store_dword v218, off, s[60:63], 0 offset:1112 ; 4-byte Folded Spill
	buffer_store_dword v219, off, s[60:63], 0 offset:1116 ; 4-byte Folded Spill
	buffer_store_dword v220, off, s[60:63], 0 offset:1120 ; 4-byte Folded Spill
	buffer_store_dword v221, off, s[60:63], 0 offset:1124 ; 4-byte Folded Spill
	v_fma_f64 v[198:199], v[194:195], v[218:219], v[192:193]
	s_waitcnt lgkmcnt(25)
	v_mul_f64 v[192:193], v[190:191], v[216:217]
	v_fma_f64 v[196:197], v[188:189], v[214:215], -v[192:193]
	v_mul_f64 v[188:189], v[188:189], v[216:217]
	buffer_store_dword v214, off, s[60:63], 0 offset:1044 ; 4-byte Folded Spill
	buffer_store_dword v215, off, s[60:63], 0 offset:1048 ; 4-byte Folded Spill
	buffer_store_dword v216, off, s[60:63], 0 offset:1052 ; 4-byte Folded Spill
	buffer_store_dword v217, off, s[60:63], 0 offset:1056 ; 4-byte Folded Spill
	v_fma_f64 v[194:195], v[190:191], v[214:215], v[188:189]
	s_clause 0x3
	global_load_dwordx4 v[200:203], v213, s[2:3] offset:112
	global_load_dwordx4 v[214:217], v213, s[2:3] offset:96
	global_load_dwordx4 v[218:221], v213, s[2:3] offset:80
	global_load_dwordx4 v[222:225], v213, s[2:3] offset:64
	s_waitcnt vmcnt(0) lgkmcnt(23)
	v_mul_f64 v[188:189], v[186:187], v[224:225]
	v_fma_f64 v[192:193], v[184:185], v[222:223], -v[188:189]
	v_mul_f64 v[184:185], v[184:185], v[224:225]
	buffer_store_dword v222, off, s[60:63], 0 offset:1268 ; 4-byte Folded Spill
	buffer_store_dword v223, off, s[60:63], 0 offset:1272 ; 4-byte Folded Spill
	buffer_store_dword v224, off, s[60:63], 0 offset:1276 ; 4-byte Folded Spill
	buffer_store_dword v225, off, s[60:63], 0 offset:1280 ; 4-byte Folded Spill
	v_fma_f64 v[190:191], v[186:187], v[222:223], v[184:185]
	s_waitcnt lgkmcnt(21)
	v_mul_f64 v[184:185], v[182:183], v[220:221]
	v_fma_f64 v[188:189], v[180:181], v[218:219], -v[184:185]
	v_mul_f64 v[180:181], v[180:181], v[220:221]
	buffer_store_dword v218, off, s[60:63], 0 offset:1176 ; 4-byte Folded Spill
	buffer_store_dword v219, off, s[60:63], 0 offset:1180 ; 4-byte Folded Spill
	buffer_store_dword v220, off, s[60:63], 0 offset:1184 ; 4-byte Folded Spill
	buffer_store_dword v221, off, s[60:63], 0 offset:1188 ; 4-byte Folded Spill
	v_fma_f64 v[186:187], v[182:183], v[218:219], v[180:181]
	s_waitcnt lgkmcnt(19)
	v_mul_f64 v[180:181], v[178:179], v[216:217]
	v_fma_f64 v[184:185], v[176:177], v[214:215], -v[180:181]
	v_mul_f64 v[176:177], v[176:177], v[216:217]
	buffer_store_dword v214, off, s[60:63], 0 offset:1144 ; 4-byte Folded Spill
	buffer_store_dword v215, off, s[60:63], 0 offset:1148 ; 4-byte Folded Spill
	buffer_store_dword v216, off, s[60:63], 0 offset:1152 ; 4-byte Folded Spill
	buffer_store_dword v217, off, s[60:63], 0 offset:1156 ; 4-byte Folded Spill
	v_fma_f64 v[180:181], v[178:179], v[214:215], v[176:177]
	s_waitcnt lgkmcnt(17)
	v_mul_f64 v[176:177], v[174:175], v[202:203]
	v_fma_f64 v[178:179], v[172:173], v[200:201], -v[176:177]
	v_mul_f64 v[172:173], v[172:173], v[202:203]
	buffer_store_dword v200, off, s[60:63], 0 offset:1076 ; 4-byte Folded Spill
	buffer_store_dword v201, off, s[60:63], 0 offset:1080 ; 4-byte Folded Spill
	buffer_store_dword v202, off, s[60:63], 0 offset:1084 ; 4-byte Folded Spill
	buffer_store_dword v203, off, s[60:63], 0 offset:1088 ; 4-byte Folded Spill
	v_fma_f64 v[176:177], v[174:175], v[200:201], v[172:173]
	s_clause 0x3
	global_load_dwordx4 v[200:203], v213, s[2:3] offset:176
	global_load_dwordx4 v[214:217], v213, s[2:3] offset:160
	global_load_dwordx4 v[218:221], v213, s[2:3] offset:144
	global_load_dwordx4 v[222:225], v213, s[2:3] offset:128
	;; [unrolled: 41-line block ×3, first 2 shown]
	s_waitcnt vmcnt(0) lgkmcnt(7)
	v_mul_f64 v[158:159], v[154:155], v[220:221]
	v_fma_f64 v[158:159], v[152:153], v[218:219], -v[158:159]
	v_mul_f64 v[152:153], v[152:153], v[220:221]
	buffer_store_dword v218, off, s[60:63], 0 offset:1336 ; 4-byte Folded Spill
	buffer_store_dword v219, off, s[60:63], 0 offset:1340 ; 4-byte Folded Spill
	buffer_store_dword v220, off, s[60:63], 0 offset:1344 ; 4-byte Folded Spill
	buffer_store_dword v221, off, s[60:63], 0 offset:1348 ; 4-byte Folded Spill
	v_fma_f64 v[152:153], v[154:155], v[218:219], v[152:153]
	s_waitcnt lgkmcnt(5)
	v_mul_f64 v[154:155], v[150:151], v[216:217]
	v_fma_f64 v[238:239], v[148:149], v[214:215], -v[154:155]
	v_mul_f64 v[148:149], v[148:149], v[216:217]
	buffer_store_dword v214, off, s[60:63], 0 offset:1288 ; 4-byte Folded Spill
	buffer_store_dword v215, off, s[60:63], 0 offset:1292 ; 4-byte Folded Spill
	buffer_store_dword v216, off, s[60:63], 0 offset:1296 ; 4-byte Folded Spill
	buffer_store_dword v217, off, s[60:63], 0 offset:1300 ; 4-byte Folded Spill
	v_fma_f64 v[154:155], v[150:151], v[214:215], v[148:149]
	s_waitcnt lgkmcnt(3)
	v_mul_f64 v[148:149], v[146:147], v[202:203]
	v_fma_f64 v[240:241], v[144:145], v[200:201], -v[148:149]
	v_mul_f64 v[144:145], v[144:145], v[202:203]
	buffer_store_dword v200, off, s[60:63], 0 offset:1252 ; 4-byte Folded Spill
	buffer_store_dword v201, off, s[60:63], 0 offset:1256 ; 4-byte Folded Spill
	buffer_store_dword v202, off, s[60:63], 0 offset:1260 ; 4-byte Folded Spill
	buffer_store_dword v203, off, s[60:63], 0 offset:1264 ; 4-byte Folded Spill
	v_fma_f64 v[144:145], v[146:147], v[200:201], v[144:145]
	s_waitcnt lgkmcnt(1)
	v_mul_f64 v[146:147], v[142:143], v[174:175]
	v_fma_f64 v[146:147], v[140:141], v[172:173], -v[146:147]
	v_mul_f64 v[140:141], v[140:141], v[174:175]
	buffer_store_dword v172, off, s[60:63], 0 offset:1232 ; 4-byte Folded Spill
	buffer_store_dword v173, off, s[60:63], 0 offset:1236 ; 4-byte Folded Spill
	;; [unrolled: 1-line block ×4, first 2 shown]
	v_fma_f64 v[140:141], v[142:143], v[172:173], v[140:141]
	v_and_b32_e32 v142, 0xff, v208
	v_mul_lo_u16 v142, v142, 37
	v_lshrrev_b16 v142, 8, v142
	v_sub_nc_u16 v143, v208, v142
	v_lshrrev_b16 v143, 1, v143
	v_and_b32_e32 v143, 0x7f, v143
	v_add_nc_u16 v142, v143, v142
	v_lshrrev_b16 v142, 2, v142
	buffer_store_dword v142, off, s[60:63], 0 offset:1372 ; 4-byte Folded Spill
	v_mul_lo_u16 v142, v142, 7
	v_sub_nc_u16 v142, v208, v142
	v_lshlrev_b32_sdwa v143, v212, v142 dst_sel:DWORD dst_unused:UNUSED_PAD src0_sel:DWORD src1_sel:BYTE_0
	s_clause 0x3
	global_load_dwordx4 v[172:175], v143, s[2:3] offset:48
	global_load_dwordx4 v[200:203], v143, s[2:3] offset:32
	;; [unrolled: 1-line block ×3, first 2 shown]
	global_load_dwordx4 v[214:217], v143, s[2:3]
	s_waitcnt vmcnt(0)
	v_mul_f64 v[148:149], v[138:139], v[216:217]
	v_fma_f64 v[226:227], v[136:137], v[214:215], -v[148:149]
	v_mul_f64 v[136:137], v[136:137], v[216:217]
	buffer_store_dword v214, off, s[60:63], 0 offset:1352 ; 4-byte Folded Spill
	buffer_store_dword v215, off, s[60:63], 0 offset:1356 ; 4-byte Folded Spill
	buffer_store_dword v216, off, s[60:63], 0 offset:1360 ; 4-byte Folded Spill
	buffer_store_dword v217, off, s[60:63], 0 offset:1364 ; 4-byte Folded Spill
	v_fma_f64 v[224:225], v[138:139], v[214:215], v[136:137]
	v_mul_f64 v[136:137], v[134:135], v[212:213]
	v_fma_f64 v[216:217], v[132:133], v[210:211], -v[136:137]
	v_mul_f64 v[132:133], v[132:133], v[212:213]
	buffer_store_dword v210, off, s[60:63], 0 offset:1320 ; 4-byte Folded Spill
	buffer_store_dword v211, off, s[60:63], 0 offset:1324 ; 4-byte Folded Spill
	buffer_store_dword v212, off, s[60:63], 0 offset:1328 ; 4-byte Folded Spill
	buffer_store_dword v213, off, s[60:63], 0 offset:1332 ; 4-byte Folded Spill
	v_fma_f64 v[214:215], v[134:135], v[210:211], v[132:133]
	;; [unrolled: 8-line block ×3, first 2 shown]
	v_mul_f64 v[128:129], v[126:127], v[174:175]
	v_fma_f64 v[246:247], v[124:125], v[172:173], -v[128:129]
	v_mul_f64 v[124:125], v[124:125], v[174:175]
	buffer_store_dword v172, off, s[60:63], 0 offset:832 ; 4-byte Folded Spill
	buffer_store_dword v173, off, s[60:63], 0 offset:836 ; 4-byte Folded Spill
	;; [unrolled: 1-line block ×4, first 2 shown]
	s_clause 0x3
	global_load_dwordx4 v[128:131], v143, s[2:3] offset:112
	global_load_dwordx4 v[132:135], v143, s[2:3] offset:96
	;; [unrolled: 1-line block ×4, first 2 shown]
	v_fma_f64 v[174:175], v[126:127], v[172:173], v[124:125]
	s_waitcnt vmcnt(0)
	v_mul_f64 v[124:125], v[122:123], v[150:151]
	v_fma_f64 v[172:173], v[120:121], v[148:149], -v[124:125]
	v_mul_f64 v[120:121], v[120:121], v[150:151]
	buffer_store_dword v148, off, s[60:63], 0 offset:900 ; 4-byte Folded Spill
	buffer_store_dword v149, off, s[60:63], 0 offset:904 ; 4-byte Folded Spill
	buffer_store_dword v150, off, s[60:63], 0 offset:908 ; 4-byte Folded Spill
	buffer_store_dword v151, off, s[60:63], 0 offset:912 ; 4-byte Folded Spill
	v_fma_f64 v[150:151], v[122:123], v[148:149], v[120:121]
	v_mul_f64 v[120:121], v[118:119], v[138:139]
	v_fma_f64 v[148:149], v[116:117], v[136:137], -v[120:121]
	v_mul_f64 v[116:117], v[116:117], v[138:139]
	buffer_store_dword v136, off, s[60:63], 0 offset:880 ; 4-byte Folded Spill
	buffer_store_dword v137, off, s[60:63], 0 offset:884 ; 4-byte Folded Spill
	buffer_store_dword v138, off, s[60:63], 0 offset:888 ; 4-byte Folded Spill
	buffer_store_dword v139, off, s[60:63], 0 offset:892 ; 4-byte Folded Spill
	v_fma_f64 v[126:127], v[118:119], v[136:137], v[116:117]
	;; [unrolled: 8-line block ×4, first 2 shown]
	s_clause 0x3
	global_load_dwordx4 v[128:131], v143, s[2:3] offset:176
	global_load_dwordx4 v[132:135], v143, s[2:3] offset:160
	;; [unrolled: 1-line block ×4, first 2 shown]
	s_waitcnt vmcnt(0)
	v_mul_f64 v[108:109], v[106:107], v[202:203]
	v_fma_f64 v[118:119], v[104:105], v[200:201], -v[108:109]
	v_mul_f64 v[104:105], v[104:105], v[202:203]
	buffer_store_dword v200, off, s[60:63], 0 offset:980 ; 4-byte Folded Spill
	buffer_store_dword v201, off, s[60:63], 0 offset:984 ; 4-byte Folded Spill
	buffer_store_dword v202, off, s[60:63], 0 offset:988 ; 4-byte Folded Spill
	buffer_store_dword v203, off, s[60:63], 0 offset:992 ; 4-byte Folded Spill
	v_fma_f64 v[114:115], v[106:107], v[200:201], v[104:105]
	v_mul_f64 v[104:105], v[98:99], v[138:139]
	v_fma_f64 v[124:125], v[96:97], v[136:137], -v[104:105]
	v_mul_f64 v[96:97], v[96:97], v[138:139]
	buffer_store_dword v136, off, s[60:63], 0 offset:948 ; 4-byte Folded Spill
	buffer_store_dword v137, off, s[60:63], 0 offset:952 ; 4-byte Folded Spill
	buffer_store_dword v138, off, s[60:63], 0 offset:956 ; 4-byte Folded Spill
	buffer_store_dword v139, off, s[60:63], 0 offset:960 ; 4-byte Folded Spill
	v_fma_f64 v[96:97], v[98:99], v[136:137], v[96:97]
	;; [unrolled: 8-line block ×4, first 2 shown]
	s_clause 0x3
	global_load_dwordx4 v[104:107], v143, s[2:3] offset:240
	global_load_dwordx4 v[108:111], v143, s[2:3] offset:224
	;; [unrolled: 1-line block ×4, first 2 shown]
	s_waitcnt vmcnt(0)
	v_mul_f64 v[88:89], v[86:87], v[134:135]
	v_fma_f64 v[250:251], v[84:85], v[132:133], -v[88:89]
	v_mul_f64 v[84:85], v[84:85], v[134:135]
	buffer_store_dword v132, off, s[60:63], 0 offset:1160 ; 4-byte Folded Spill
	buffer_store_dword v133, off, s[60:63], 0 offset:1164 ; 4-byte Folded Spill
	buffer_store_dword v134, off, s[60:63], 0 offset:1168 ; 4-byte Folded Spill
	buffer_store_dword v135, off, s[60:63], 0 offset:1172 ; 4-byte Folded Spill
	v_fma_f64 v[202:203], v[86:87], v[132:133], v[84:85]
	v_mul_f64 v[84:85], v[82:83], v[130:131]
	v_fma_f64 v[218:219], v[80:81], v[128:129], -v[84:85]
	v_mul_f64 v[80:81], v[80:81], v[130:131]
	buffer_store_dword v128, off, s[60:63], 0 offset:1092 ; 4-byte Folded Spill
	buffer_store_dword v129, off, s[60:63], 0 offset:1096 ; 4-byte Folded Spill
	buffer_store_dword v130, off, s[60:63], 0 offset:1100 ; 4-byte Folded Spill
	buffer_store_dword v131, off, s[60:63], 0 offset:1104 ; 4-byte Folded Spill
	v_fma_f64 v[210:211], v[82:83], v[128:129], v[80:81]
	;; [unrolled: 8-line block ×3, first 2 shown]
	s_waitcnt lgkmcnt(0)
	v_mul_f64 v[72:73], v[70:71], v[106:107]
	v_add_f64 v[108:109], v[242:243], -v[146:147]
	v_fma_f64 v[230:231], v[68:69], v[104:105], -v[72:73]
	v_mul_f64 v[68:69], v[68:69], v[106:107]
	buffer_store_dword v104, off, s[60:63], 0 offset:1028 ; 4-byte Folded Spill
	buffer_store_dword v105, off, s[60:63], 0 offset:1032 ; 4-byte Folded Spill
	;; [unrolled: 1-line block ×4, first 2 shown]
	v_mul_f64 v[132:133], v[108:109], s[22:23]
	v_fma_f64 v[228:229], v[70:71], v[104:105], v[68:69]
	v_and_b32_e32 v68, 0xff, v209
	v_mul_lo_u16 v68, v68, 37
	v_lshrrev_b16 v68, 8, v68
	v_sub_nc_u16 v69, v209, v68
	v_lshrrev_b16 v69, 1, v69
	v_and_b32_e32 v69, 0x7f, v69
	v_add_nc_u16 v68, v69, v68
	v_lshrrev_b16 v68, 2, v68
	v_mul_lo_u16 v68, v68, 7
	v_sub_nc_u16 v143, v209, v68
	v_lshlrev_b16 v68, 4, v143
	v_and_b32_e32 v68, 0xf0, v68
	v_lshlrev_b32_e32 v70, 4, v68
	s_clause 0x3
	global_load_dwordx4 v[71:74], v70, s[2:3] offset:48
	global_load_dwordx4 v[80:83], v70, s[2:3] offset:32
	;; [unrolled: 1-line block ×3, first 2 shown]
	global_load_dwordx4 v[88:91], v70, s[2:3]
	s_waitcnt vmcnt(0)
	v_mul_f64 v[68:69], v[50:51], v[90:91]
	v_fma_f64 v[104:105], v[48:49], v[88:89], -v[68:69]
	v_mul_f64 v[48:49], v[48:49], v[90:91]
	buffer_store_dword v88, off, s[60:63], 0 offset:1952 ; 4-byte Folded Spill
	buffer_store_dword v89, off, s[60:63], 0 offset:1956 ; 4-byte Folded Spill
	;; [unrolled: 1-line block ×4, first 2 shown]
	v_fma_f64 v[88:89], v[50:51], v[88:89], v[48:49]
	v_mul_f64 v[48:49], v[58:59], v[86:87]
	v_fma_f64 v[48:49], v[56:57], v[84:85], -v[48:49]
	buffer_store_dword v48, off, s[60:63], 0 offset:1712 ; 4-byte Folded Spill
	buffer_store_dword v49, off, s[60:63], 0 offset:1716 ; 4-byte Folded Spill
	v_mul_f64 v[48:49], v[56:57], v[86:87]
	buffer_store_dword v84, off, s[60:63], 0 offset:1888 ; 4-byte Folded Spill
	buffer_store_dword v85, off, s[60:63], 0 offset:1892 ; 4-byte Folded Spill
	buffer_store_dword v86, off, s[60:63], 0 offset:1896 ; 4-byte Folded Spill
	buffer_store_dword v87, off, s[60:63], 0 offset:1900 ; 4-byte Folded Spill
	v_fma_f64 v[84:85], v[58:59], v[84:85], v[48:49]
	v_mul_f64 v[48:49], v[62:63], v[82:83]
	v_fma_f64 v[86:87], v[60:61], v[80:81], -v[48:49]
	v_mul_f64 v[48:49], v[60:61], v[82:83]
	buffer_store_dword v80, off, s[60:63], 0 offset:1856 ; 4-byte Folded Spill
	buffer_store_dword v81, off, s[60:63], 0 offset:1860 ; 4-byte Folded Spill
	;; [unrolled: 1-line block ×4, first 2 shown]
	v_fma_f64 v[106:107], v[62:63], v[80:81], v[48:49]
	v_mul_f64 v[48:49], v[66:67], v[73:74]
	v_fma_f64 v[82:83], v[64:65], v[71:72], -v[48:49]
	v_mul_f64 v[48:49], v[64:65], v[73:74]
	buffer_store_dword v71, off, s[60:63], 0 offset:1824 ; 4-byte Folded Spill
	buffer_store_dword v72, off, s[60:63], 0 offset:1828 ; 4-byte Folded Spill
	;; [unrolled: 1-line block ×4, first 2 shown]
	v_fma_f64 v[48:49], v[66:67], v[71:72], v[48:49]
	buffer_store_dword v48, off, s[60:63], 0 offset:1632 ; 4-byte Folded Spill
	buffer_store_dword v49, off, s[60:63], 0 offset:1636 ; 4-byte Folded Spill
	s_clause 0x3
	global_load_dwordx4 v[71:74], v70, s[2:3] offset:112
	global_load_dwordx4 v[64:67], v70, s[2:3] offset:96
	;; [unrolled: 1-line block ×4, first 2 shown]
	s_waitcnt vmcnt(0)
	v_mul_f64 v[48:49], v[34:35], v[58:59]
	v_fma_f64 v[48:49], v[32:33], v[56:57], -v[48:49]
	buffer_store_dword v48, off, s[60:63], 0 offset:1536 ; 4-byte Folded Spill
	buffer_store_dword v49, off, s[60:63], 0 offset:1540 ; 4-byte Folded Spill
	v_mul_f64 v[32:33], v[32:33], v[58:59]
	buffer_store_dword v56, off, s[60:63], 0 offset:1840 ; 4-byte Folded Spill
	buffer_store_dword v57, off, s[60:63], 0 offset:1844 ; 4-byte Folded Spill
	buffer_store_dword v58, off, s[60:63], 0 offset:1848 ; 4-byte Folded Spill
	buffer_store_dword v59, off, s[60:63], 0 offset:1852 ; 4-byte Folded Spill
	v_fma_f64 v[32:33], v[34:35], v[56:57], v[32:33]
	buffer_store_dword v32, off, s[60:63], 0 offset:1552 ; 4-byte Folded Spill
	buffer_store_dword v33, off, s[60:63], 0 offset:1556 ; 4-byte Folded Spill
	v_mul_f64 v[32:33], v[42:43], v[62:63]
	v_fma_f64 v[90:91], v[40:41], v[60:61], -v[32:33]
	v_mul_f64 v[32:33], v[40:41], v[62:63]
	buffer_store_dword v60, off, s[60:63], 0 offset:1904 ; 4-byte Folded Spill
	buffer_store_dword v61, off, s[60:63], 0 offset:1908 ; 4-byte Folded Spill
	buffer_store_dword v62, off, s[60:63], 0 offset:1912 ; 4-byte Folded Spill
	buffer_store_dword v63, off, s[60:63], 0 offset:1916 ; 4-byte Folded Spill
	v_fma_f64 v[32:33], v[42:43], v[60:61], v[32:33]
	buffer_store_dword v32, off, s[60:63], 0 offset:1504 ; 4-byte Folded Spill
	buffer_store_dword v33, off, s[60:63], 0 offset:1508 ; 4-byte Folded Spill
	v_mul_f64 v[32:33], v[46:47], v[66:67]
	v_fma_f64 v[252:253], v[44:45], v[64:65], -v[32:33]
	;; [unrolled: 10-line block ×3, first 2 shown]
	buffer_store_dword v32, off, s[60:63], 0 offset:1392 ; 4-byte Folded Spill
	buffer_store_dword v33, off, s[60:63], 0 offset:1396 ; 4-byte Folded Spill
	v_mul_f64 v[32:33], v[52:53], v[73:74]
	buffer_store_dword v71, off, s[60:63], 0 offset:1936 ; 4-byte Folded Spill
	buffer_store_dword v72, off, s[60:63], 0 offset:1940 ; 4-byte Folded Spill
	;; [unrolled: 1-line block ×4, first 2 shown]
	v_fma_f64 v[32:33], v[54:55], v[71:72], v[32:33]
	buffer_store_dword v32, off, s[60:63], 0 offset:1408 ; 4-byte Folded Spill
	buffer_store_dword v33, off, s[60:63], 0 offset:1412 ; 4-byte Folded Spill
	s_clause 0x3
	global_load_dwordx4 v[40:43], v70, s[2:3] offset:176
	global_load_dwordx4 v[44:47], v70, s[2:3] offset:160
	global_load_dwordx4 v[48:51], v70, s[2:3] offset:144
	global_load_dwordx4 v[52:55], v70, s[2:3] offset:128
	s_waitcnt vmcnt(0)
	v_mul_f64 v[32:33], v[18:19], v[54:55]
	v_fma_f64 v[32:33], v[16:17], v[52:53], -v[32:33]
	buffer_store_dword v32, off, s[60:63], 0 offset:1440 ; 4-byte Folded Spill
	buffer_store_dword v33, off, s[60:63], 0 offset:1444 ; 4-byte Folded Spill
	v_mul_f64 v[16:17], v[16:17], v[54:55]
	buffer_store_dword v52, off, s[60:63], 0 offset:2016 ; 4-byte Folded Spill
	buffer_store_dword v53, off, s[60:63], 0 offset:2020 ; 4-byte Folded Spill
	buffer_store_dword v54, off, s[60:63], 0 offset:2024 ; 4-byte Folded Spill
	buffer_store_dword v55, off, s[60:63], 0 offset:2028 ; 4-byte Folded Spill
	v_fma_f64 v[16:17], v[18:19], v[52:53], v[16:17]
	buffer_store_dword v16, off, s[60:63], 0 offset:1456 ; 4-byte Folded Spill
	buffer_store_dword v17, off, s[60:63], 0 offset:1460 ; 4-byte Folded Spill
	v_mul_f64 v[16:17], v[26:27], v[50:51]
	v_fma_f64 v[52:53], v[24:25], v[48:49], -v[16:17]
	v_mul_f64 v[16:17], v[24:25], v[50:51]
	buffer_store_dword v48, off, s[60:63], 0 offset:2000 ; 4-byte Folded Spill
	buffer_store_dword v49, off, s[60:63], 0 offset:2004 ; 4-byte Folded Spill
	buffer_store_dword v50, off, s[60:63], 0 offset:2008 ; 4-byte Folded Spill
	buffer_store_dword v51, off, s[60:63], 0 offset:2012 ; 4-byte Folded Spill
	v_fma_f64 v[16:17], v[26:27], v[48:49], v[16:17]
	buffer_store_dword v16, off, s[60:63], 0 offset:1488 ; 4-byte Folded Spill
	buffer_store_dword v17, off, s[60:63], 0 offset:1492 ; 4-byte Folded Spill
	v_mul_f64 v[16:17], v[30:31], v[46:47]
	v_fma_f64 v[54:55], v[28:29], v[44:45], -v[16:17]
	;; [unrolled: 10-line block ×3, first 2 shown]
	v_mul_f64 v[16:17], v[36:37], v[42:43]
	buffer_store_dword v40, off, s[60:63], 0 offset:1872 ; 4-byte Folded Spill
	buffer_store_dword v41, off, s[60:63], 0 offset:1876 ; 4-byte Folded Spill
	;; [unrolled: 1-line block ×4, first 2 shown]
	v_fma_f64 v[16:17], v[38:39], v[40:41], v[16:17]
	buffer_store_dword v16, off, s[60:63], 0 offset:1600 ; 4-byte Folded Spill
	buffer_store_dword v17, off, s[60:63], 0 offset:1604 ; 4-byte Folded Spill
	s_clause 0x3
	global_load_dwordx4 v[36:39], v70, s[2:3] offset:240
	global_load_dwordx4 v[32:35], v70, s[2:3] offset:224
	;; [unrolled: 1-line block ×4, first 2 shown]
	s_waitcnt vmcnt(0)
	v_mul_f64 v[16:17], v[6:7], v[26:27]
	v_fma_f64 v[46:47], v[4:5], v[24:25], -v[16:17]
	v_mul_f64 v[4:5], v[4:5], v[26:27]
	buffer_store_dword v24, off, s[60:63], 0 offset:1968 ; 4-byte Folded Spill
	buffer_store_dword v25, off, s[60:63], 0 offset:1972 ; 4-byte Folded Spill
	;; [unrolled: 1-line block ×4, first 2 shown]
	v_mov_b32_e32 v26, v54
	v_mov_b32_e32 v27, v55
	v_fma_f64 v[4:5], v[6:7], v[24:25], v[4:5]
	buffer_store_dword v4, off, s[60:63], 0 offset:1664 ; 4-byte Folded Spill
	buffer_store_dword v5, off, s[60:63], 0 offset:1668 ; 4-byte Folded Spill
	v_mul_f64 v[4:5], v[10:11], v[30:31]
	v_add_f64 v[6:7], v[2:3], v[244:245]
	v_mov_b32_e32 v24, v90
	v_mov_b32_e32 v25, v91
	v_fma_f64 v[74:75], v[8:9], v[28:29], -v[4:5]
	v_mul_f64 v[4:5], v[8:9], v[30:31]
	buffer_store_dword v28, off, s[60:63], 0 offset:2032 ; 4-byte Folded Spill
	buffer_store_dword v29, off, s[60:63], 0 offset:2036 ; 4-byte Folded Spill
	;; [unrolled: 1-line block ×4, first 2 shown]
	v_add_f64 v[6:7], v[6:7], v[234:235]
	v_add_f64 v[6:7], v[6:7], v[198:199]
	;; [unrolled: 1-line block ×15, first 2 shown]
	v_fma_f64 v[80:81], v[10:11], v[28:29], v[4:5]
	v_mul_f64 v[4:5], v[14:15], v[34:35]
	v_mul_f64 v[10:11], v[108:109], s[38:39]
	v_fma_f64 v[70:71], v[12:13], v[32:33], -v[4:5]
	v_mul_f64 v[4:5], v[12:13], v[34:35]
	buffer_store_dword v32, off, s[60:63], 0 offset:2048 ; 4-byte Folded Spill
	buffer_store_dword v33, off, s[60:63], 0 offset:2052 ; 4-byte Folded Spill
	;; [unrolled: 1-line block ×4, first 2 shown]
	v_fma_f64 v[72:73], v[14:15], v[32:33], v[4:5]
	v_mul_f64 v[4:5], v[22:23], v[38:39]
	v_add_f64 v[32:33], v[244:245], -v[140:141]
	v_fma_f64 v[66:67], v[20:21], v[36:37], -v[4:5]
	v_mul_f64 v[4:5], v[20:21], v[38:39]
	buffer_store_dword v36, off, s[60:63], 0 offset:2064 ; 4-byte Folded Spill
	buffer_store_dword v37, off, s[60:63], 0 offset:2068 ; 4-byte Folded Spill
	;; [unrolled: 1-line block ×4, first 2 shown]
	v_mul_f64 v[34:35], v[32:33], s[50:51]
	v_mul_f64 v[8:9], v[32:33], s[38:39]
	;; [unrolled: 1-line block ×6, first 2 shown]
	v_fma_f64 v[36:37], v[22:23], v[36:37], v[4:5]
	v_add_f64 v[4:5], v[0:1], v[242:243]
	v_add_f64 v[22:23], v[242:243], v[146:147]
	;; [unrolled: 1-line block ×3, first 2 shown]
	v_fma_f64 v[40:41], v[22:23], s[16:17], -v[34:35]
	v_fma_f64 v[34:35], v[22:23], s[16:17], v[34:35]
	v_fma_f64 v[14:15], v[22:23], s[20:21], -v[18:19]
	v_fma_f64 v[18:19], v[22:23], s[20:21], v[18:19]
	;; [unrolled: 2-line block ×4, first 2 shown]
	v_add_f64 v[4:5], v[4:5], v[232:233]
	v_add_f64 v[48:49], v[0:1], v[40:41]
	v_mul_f64 v[40:41], v[108:109], s[50:51]
	v_add_f64 v[56:57], v[0:1], v[34:35]
	v_add_f64 v[14:15], v[0:1], v[14:15]
	;; [unrolled: 1-line block ×20, first 2 shown]
	buffer_store_dword v4, off, s[60:63], 0 offset:1376 ; 4-byte Folded Spill
	buffer_store_dword v5, off, s[60:63], 0 offset:1380 ; 4-byte Folded Spill
	;; [unrolled: 1-line block ×4, first 2 shown]
	v_add_f64 v[4:5], v[244:245], v[140:141]
	v_fma_f64 v[6:7], v[22:23], s[26:27], -v[8:9]
	v_mul_f64 v[140:141], v[108:109], s[30:31]
	v_fma_f64 v[8:9], v[22:23], s[26:27], v[8:9]
	v_fma_f64 v[34:35], v[4:5], s[16:17], -v[40:41]
	v_fma_f64 v[42:43], v[4:5], s[16:17], v[40:41]
	v_add_f64 v[12:13], v[0:1], v[6:7]
	v_fma_f64 v[6:7], v[4:5], s[26:27], v[10:11]
	v_fma_f64 v[10:11], v[4:5], s[26:27], -v[10:11]
	v_fma_f64 v[16:17], v[4:5], s[20:21], v[20:21]
	v_fma_f64 v[20:21], v[4:5], s[20:21], -v[20:21]
	;; [unrolled: 2-line block ×4, first 2 shown]
	v_add_f64 v[8:9], v[0:1], v[8:9]
	v_add_f64 v[68:69], v[2:3], v[34:35]
	v_mul_f64 v[34:35], v[32:33], s[44:45]
	v_add_f64 v[50:51], v[2:3], v[42:43]
	v_add_f64 v[6:7], v[2:3], v[6:7]
	;; [unrolled: 1-line block ×9, first 2 shown]
	v_fma_f64 v[40:41], v[22:23], s[6:7], -v[34:35]
	v_fma_f64 v[34:35], v[22:23], s[6:7], v[34:35]
	v_add_f64 v[58:59], v[0:1], v[40:41]
	v_mul_f64 v[40:41], v[108:109], s[44:45]
	v_add_f64 v[110:111], v[0:1], v[34:35]
	v_fma_f64 v[42:43], v[4:5], s[6:7], v[40:41]
	v_fma_f64 v[34:35], v[4:5], s[6:7], -v[40:41]
	v_add_f64 v[60:61], v[2:3], v[42:43]
	v_add_f64 v[128:129], v[2:3], v[34:35]
	v_mul_f64 v[34:35], v[32:33], s[14:15]
	v_mul_f64 v[42:43], v[108:109], s[14:15]
	;; [unrolled: 1-line block ×4, first 2 shown]
	v_fma_f64 v[40:41], v[22:23], s[12:13], -v[34:35]
	v_fma_f64 v[62:63], v[4:5], s[12:13], v[42:43]
	v_fma_f64 v[34:35], v[22:23], s[12:13], v[34:35]
	v_fma_f64 v[42:43], v[4:5], s[12:13], -v[42:43]
	v_fma_f64 v[242:243], v[22:23], s[36:37], -v[32:33]
	v_fma_f64 v[244:245], v[4:5], s[36:37], v[108:109]
	v_fma_f64 v[22:23], v[22:23], s[36:37], v[32:33]
	v_fma_f64 v[4:5], v[4:5], s[36:37], -v[108:109]
	v_add_f64 v[108:109], v[234:235], -v[144:145]
	v_add_f64 v[32:33], v[236:237], -v[240:241]
	v_add_f64 v[40:41], v[0:1], v[40:41]
	v_add_f64 v[62:63], v[2:3], v[62:63]
	;; [unrolled: 1-line block ×10, first 2 shown]
	v_mul_f64 v[144:145], v[108:109], s[48:49]
	v_fma_f64 v[234:235], v[4:5], s[20:21], -v[144:145]
	v_fma_f64 v[144:145], v[4:5], s[20:21], v[144:145]
	v_add_f64 v[12:13], v[234:235], v[12:13]
	v_mul_f64 v[234:235], v[32:33], s[48:49]
	v_add_f64 v[8:9], v[144:145], v[8:9]
	v_fma_f64 v[144:145], v[22:23], s[20:21], -v[234:235]
	v_fma_f64 v[236:237], v[22:23], s[20:21], v[234:235]
	v_add_f64 v[10:11], v[144:145], v[10:11]
	v_mul_f64 v[144:145], v[108:109], s[44:45]
	v_add_f64 v[6:7], v[236:237], v[6:7]
	;; [unrolled: 5-line block ×11, first 2 shown]
	v_fma_f64 v[144:145], v[22:23], s[12:13], -v[234:235]
	v_fma_f64 v[236:237], v[22:23], s[12:13], v[234:235]
	v_add_f64 v[132:133], v[144:145], v[132:133]
	v_mul_f64 v[144:145], v[108:109], s[24:25]
	v_mul_f64 v[108:109], v[108:109], s[46:47]
	v_add_f64 v[134:135], v[236:237], v[134:135]
	v_fma_f64 v[234:235], v[4:5], s[16:17], -v[144:145]
	v_fma_f64 v[144:145], v[4:5], s[16:17], v[144:145]
	v_add_f64 v[138:139], v[234:235], v[138:139]
	v_mul_f64 v[234:235], v[32:33], s[24:25]
	v_add_f64 v[136:137], v[144:145], v[136:137]
	v_mul_f64 v[32:33], v[32:33], s[46:47]
	v_fma_f64 v[144:145], v[22:23], s[16:17], -v[234:235]
	v_fma_f64 v[236:237], v[22:23], s[16:17], v[234:235]
	v_fma_f64 v[234:235], v[22:23], s[26:27], v[32:33]
	v_add_f64 v[140:141], v[144:145], v[140:141]
	v_fma_f64 v[144:145], v[4:5], s[26:27], -v[108:109]
	v_fma_f64 v[4:5], v[4:5], s[26:27], v[108:109]
	v_add_f64 v[108:109], v[198:199], -v[154:155]
	v_add_f64 v[234:235], v[234:235], v[244:245]
	v_add_f64 v[146:147], v[236:237], v[146:147]
	;; [unrolled: 1-line block ×4, first 2 shown]
	v_fma_f64 v[4:5], v[22:23], s[26:27], -v[32:33]
	v_add_f64 v[22:23], v[198:199], v[154:155]
	v_mul_f64 v[154:155], v[108:109], s[50:51]
	v_add_f64 v[32:33], v[232:233], -v[238:239]
	v_add_f64 v[2:3], v[4:5], v[2:3]
	v_add_f64 v[4:5], v[232:233], v[238:239]
	v_fma_f64 v[198:199], v[4:5], s[16:17], -v[154:155]
	v_fma_f64 v[154:155], v[4:5], s[16:17], v[154:155]
	v_add_f64 v[12:13], v[198:199], v[12:13]
	v_mul_f64 v[198:199], v[32:33], s[50:51]
	v_add_f64 v[8:9], v[154:155], v[8:9]
	v_fma_f64 v[154:155], v[22:23], s[16:17], -v[198:199]
	v_fma_f64 v[232:233], v[22:23], s[16:17], v[198:199]
	v_add_f64 v[10:11], v[154:155], v[10:11]
	v_mul_f64 v[154:155], v[108:109], s[22:23]
	;; [unrolled: 5-line block ×12, first 2 shown]
	v_mul_f64 v[108:109], v[108:109], s[30:31]
	v_add_f64 v[134:135], v[232:233], v[134:135]
	v_fma_f64 v[198:199], v[4:5], s[6:7], -v[154:155]
	v_fma_f64 v[154:155], v[4:5], s[6:7], v[154:155]
	v_add_f64 v[138:139], v[198:199], v[138:139]
	v_mul_f64 v[198:199], v[32:33], s[44:45]
	v_add_f64 v[136:137], v[154:155], v[136:137]
	v_mul_f64 v[32:33], v[32:33], s[30:31]
	v_fma_f64 v[154:155], v[22:23], s[6:7], -v[198:199]
	v_fma_f64 v[232:233], v[22:23], s[6:7], v[198:199]
	v_add_f64 v[140:141], v[154:155], v[140:141]
	v_fma_f64 v[154:155], v[4:5], s[28:29], -v[108:109]
	v_fma_f64 v[4:5], v[4:5], s[28:29], v[108:109]
	v_add_f64 v[108:109], v[194:195], -v[152:153]
	v_add_f64 v[146:147], v[232:233], v[146:147]
	v_add_f64 v[144:145], v[154:155], v[144:145]
	;; [unrolled: 1-line block ×3, first 2 shown]
	v_fma_f64 v[4:5], v[22:23], s[28:29], -v[32:33]
	v_fma_f64 v[154:155], v[22:23], s[28:29], v[32:33]
	v_add_f64 v[22:23], v[194:195], v[152:153]
	v_mul_f64 v[152:153], v[108:109], s[44:45]
	v_add_f64 v[32:33], v[196:197], -v[158:159]
	v_add_f64 v[2:3], v[4:5], v[2:3]
	v_add_f64 v[4:5], v[196:197], v[158:159]
	v_add_f64 v[154:155], v[154:155], v[234:235]
	v_add_f64 v[196:197], v[180:181], -v[164:165]
	v_fma_f64 v[158:159], v[4:5], s[6:7], -v[152:153]
	v_fma_f64 v[152:153], v[4:5], s[6:7], v[152:153]
	v_add_f64 v[12:13], v[158:159], v[12:13]
	v_mul_f64 v[158:159], v[32:33], s[44:45]
	v_add_f64 v[8:9], v[152:153], v[8:9]
	v_fma_f64 v[152:153], v[22:23], s[6:7], -v[158:159]
	v_fma_f64 v[194:195], v[22:23], s[6:7], v[158:159]
	v_add_f64 v[10:11], v[152:153], v[10:11]
	v_mul_f64 v[152:153], v[108:109], s[40:41]
	v_add_f64 v[6:7], v[194:195], v[6:7]
	;; [unrolled: 5-line block ×11, first 2 shown]
	v_fma_f64 v[152:153], v[22:23], s[28:29], -v[158:159]
	v_fma_f64 v[194:195], v[22:23], s[28:29], v[158:159]
	v_add_f64 v[132:133], v[152:153], v[132:133]
	v_mul_f64 v[152:153], v[108:109], s[56:57]
	v_mul_f64 v[108:109], v[108:109], s[42:43]
	v_add_f64 v[134:135], v[194:195], v[134:135]
	v_fma_f64 v[158:159], v[4:5], s[18:19], -v[152:153]
	v_fma_f64 v[152:153], v[4:5], s[18:19], v[152:153]
	v_add_f64 v[138:139], v[158:159], v[138:139]
	v_mul_f64 v[158:159], v[32:33], s[56:57]
	v_add_f64 v[136:137], v[152:153], v[136:137]
	v_mul_f64 v[32:33], v[32:33], s[42:43]
	v_fma_f64 v[152:153], v[22:23], s[18:19], -v[158:159]
	v_fma_f64 v[194:195], v[22:23], s[18:19], v[158:159]
	v_add_f64 v[140:141], v[152:153], v[140:141]
	v_fma_f64 v[152:153], v[4:5], s[20:21], -v[108:109]
	v_fma_f64 v[4:5], v[4:5], s[20:21], v[108:109]
	v_add_f64 v[108:109], v[190:191], -v[156:157]
	v_add_f64 v[146:147], v[194:195], v[146:147]
	v_add_f64 v[144:145], v[152:153], v[144:145]
	v_fma_f64 v[152:153], v[22:23], s[20:21], v[32:33]
	v_add_f64 v[0:1], v[4:5], v[0:1]
	v_fma_f64 v[4:5], v[22:23], s[20:21], -v[32:33]
	v_add_f64 v[22:23], v[190:191], v[156:157]
	v_add_f64 v[32:33], v[192:193], -v[162:163]
	v_add_f64 v[152:153], v[152:153], v[154:155]
	v_mul_f64 v[154:155], v[108:109], s[14:15]
	v_add_f64 v[2:3], v[4:5], v[2:3]
	v_add_f64 v[4:5], v[192:193], v[162:163]
	v_fma_f64 v[156:157], v[4:5], s[12:13], -v[154:155]
	v_fma_f64 v[154:155], v[4:5], s[12:13], v[154:155]
	v_add_f64 v[12:13], v[156:157], v[12:13]
	v_mul_f64 v[156:157], v[32:33], s[14:15]
	v_add_f64 v[8:9], v[154:155], v[8:9]
	v_fma_f64 v[154:155], v[22:23], s[12:13], -v[156:157]
	v_fma_f64 v[158:159], v[22:23], s[12:13], v[156:157]
	v_add_f64 v[10:11], v[154:155], v[10:11]
	v_mul_f64 v[154:155], v[108:109], s[54:55]
	;; [unrolled: 5-line block ×12, first 2 shown]
	v_mul_f64 v[108:109], v[108:109], s[22:23]
	v_add_f64 v[134:135], v[158:159], v[134:135]
	v_fma_f64 v[156:157], v[4:5], s[26:27], -v[154:155]
	v_fma_f64 v[154:155], v[4:5], s[26:27], v[154:155]
	v_add_f64 v[138:139], v[156:157], v[138:139]
	v_mul_f64 v[156:157], v[32:33], s[38:39]
	v_add_f64 v[136:137], v[154:155], v[136:137]
	v_mul_f64 v[32:33], v[32:33], s[22:23]
	v_fma_f64 v[154:155], v[22:23], s[26:27], -v[156:157]
	v_fma_f64 v[158:159], v[22:23], s[26:27], v[156:157]
	v_add_f64 v[140:141], v[154:155], v[140:141]
	v_fma_f64 v[154:155], v[4:5], s[18:19], -v[108:109]
	v_fma_f64 v[4:5], v[4:5], s[18:19], v[108:109]
	v_add_f64 v[108:109], v[186:187], -v[160:161]
	v_add_f64 v[146:147], v[158:159], v[146:147]
	v_add_f64 v[144:145], v[154:155], v[144:145]
	v_fma_f64 v[154:155], v[22:23], s[18:19], v[32:33]
	v_add_f64 v[0:1], v[4:5], v[0:1]
	v_fma_f64 v[4:5], v[22:23], s[18:19], -v[32:33]
	v_add_f64 v[32:33], v[188:189], -v[166:167]
	v_add_f64 v[22:23], v[186:187], v[160:161]
	v_add_f64 v[152:153], v[154:155], v[152:153]
	v_mul_f64 v[154:155], v[108:109], s[22:23]
	v_add_f64 v[2:3], v[4:5], v[2:3]
	v_add_f64 v[4:5], v[188:189], v[166:167]
	v_fma_f64 v[156:157], v[4:5], s[18:19], -v[154:155]
	v_fma_f64 v[154:155], v[4:5], s[18:19], v[154:155]
	v_add_f64 v[12:13], v[156:157], v[12:13]
	v_mul_f64 v[156:157], v[32:33], s[22:23]
	v_add_f64 v[8:9], v[154:155], v[8:9]
	v_fma_f64 v[154:155], v[22:23], s[18:19], -v[156:157]
	v_fma_f64 v[158:159], v[22:23], s[18:19], v[156:157]
	v_add_f64 v[10:11], v[154:155], v[10:11]
	v_mul_f64 v[154:155], v[108:109], s[52:53]
	;; [unrolled: 5-line block ×4, first 2 shown]
	v_add_f64 v[16:17], v[158:159], v[16:17]
	v_fma_f64 v[156:157], v[4:5], s[26:27], -v[154:155]
	v_add_f64 v[48:49], v[156:157], v[48:49]
	v_mul_f64 v[156:157], v[32:33], s[38:39]
	v_fma_f64 v[158:159], v[22:23], s[26:27], v[156:157]
	v_add_f64 v[158:159], v[158:159], v[50:51]
	v_fma_f64 v[50:51], v[4:5], s[26:27], v[154:155]
	v_add_f64 v[154:155], v[50:51], v[56:57]
	v_fma_f64 v[50:51], v[22:23], s[26:27], -v[156:157]
	v_add_f64 v[156:157], v[50:51], v[68:69]
	v_mul_f64 v[50:51], v[108:109], s[30:31]
	v_fma_f64 v[56:57], v[4:5], s[28:29], -v[50:51]
	v_fma_f64 v[50:51], v[4:5], s[28:29], v[50:51]
	v_add_f64 v[58:59], v[56:57], v[58:59]
	v_mul_f64 v[56:57], v[32:33], s[30:31]
	v_add_f64 v[110:111], v[50:51], v[110:111]
	v_fma_f64 v[50:51], v[22:23], s[28:29], -v[56:57]
	v_fma_f64 v[68:69], v[22:23], s[28:29], v[56:57]
	v_add_f64 v[128:129], v[50:51], v[128:129]
	v_mul_f64 v[50:51], v[108:109], s[34:35]
	v_add_f64 v[60:61], v[68:69], v[60:61]
	;; [unrolled: 5-line block ×7, first 2 shown]
	v_mul_f64 v[32:33], v[32:33], s[24:25]
	v_fma_f64 v[50:51], v[22:23], s[36:37], -v[56:57]
	v_fma_f64 v[68:69], v[22:23], s[36:37], v[56:57]
	v_add_f64 v[140:141], v[50:51], v[140:141]
	v_mul_f64 v[50:51], v[108:109], s[24:25]
	v_add_f64 v[192:193], v[68:69], v[146:147]
	v_fma_f64 v[56:57], v[4:5], s[16:17], -v[50:51]
	v_fma_f64 v[4:5], v[4:5], s[16:17], v[50:51]
	v_mul_f64 v[50:51], v[196:197], s[30:31]
	v_add_f64 v[108:109], v[56:57], v[144:145]
	v_add_f64 v[0:1], v[4:5], v[0:1]
	v_fma_f64 v[4:5], v[22:23], s[16:17], -v[32:33]
	v_fma_f64 v[56:57], v[22:23], s[16:17], v[32:33]
	v_add_f64 v[32:33], v[184:185], -v[170:171]
	v_add_f64 v[22:23], v[180:181], v[164:165]
	v_add_f64 v[2:3], v[4:5], v[2:3]
	;; [unrolled: 1-line block ×4, first 2 shown]
	v_fma_f64 v[56:57], v[4:5], s[28:29], -v[50:51]
	v_add_f64 v[198:199], v[56:57], v[12:13]
	v_mul_f64 v[12:13], v[32:33], s[30:31]
	v_fma_f64 v[56:57], v[22:23], s[28:29], v[12:13]
	v_add_f64 v[232:233], v[56:57], v[6:7]
	v_fma_f64 v[6:7], v[4:5], s[28:29], v[50:51]
	v_add_f64 v[234:235], v[6:7], v[8:9]
	v_fma_f64 v[6:7], v[22:23], s[28:29], -v[12:13]
	v_mul_f64 v[12:13], v[32:33], s[14:15]
	v_add_f64 v[236:237], v[6:7], v[10:11]
	v_mul_f64 v[6:7], v[196:197], s[24:25]
	v_fma_f64 v[8:9], v[4:5], s[16:17], -v[6:7]
	v_fma_f64 v[6:7], v[4:5], s[16:17], v[6:7]
	v_add_f64 v[132:133], v[8:9], v[14:15]
	v_mul_f64 v[8:9], v[32:33], s[24:25]
	v_add_f64 v[56:57], v[6:7], v[18:19]
	v_fma_f64 v[6:7], v[22:23], s[16:17], -v[8:9]
	v_fma_f64 v[10:11], v[22:23], s[16:17], v[8:9]
	v_add_f64 v[50:51], v[6:7], v[20:21]
	v_mul_f64 v[6:7], v[196:197], s[44:45]
	v_add_f64 v[134:135], v[10:11], v[16:17]
	;; [unrolled: 5-line block ×6, first 2 shown]
	v_mov_b32_e32 v129, v25
	v_mov_b32_e32 v128, v24
	v_fma_f64 v[8:9], v[4:5], s[26:27], -v[6:7]
	v_fma_f64 v[6:7], v[4:5], s[26:27], v[6:7]
	v_add_f64 v[160:161], v[8:9], v[40:41]
	v_mul_f64 v[8:9], v[32:33], s[38:39]
	v_add_f64 v[164:165], v[6:7], v[34:35]
	v_fma_f64 v[6:7], v[22:23], s[26:27], -v[8:9]
	v_fma_f64 v[10:11], v[22:23], s[26:27], v[8:9]
	v_add_f64 v[166:167], v[6:7], v[42:43]
	v_mul_f64 v[6:7], v[196:197], s[40:41]
	v_add_f64 v[162:163], v[10:11], v[62:63]
	;; [unrolled: 5-line block ×3, first 2 shown]
	v_mov_b32_e32 v130, v252
	v_mov_b32_e32 v131, v253
	v_fma_f64 v[6:7], v[22:23], s[36:37], -v[8:9]
	v_fma_f64 v[10:11], v[22:23], s[36:37], v[8:9]
	v_add_f64 v[180:181], v[6:7], v[190:191]
	v_mul_f64 v[6:7], v[196:197], s[42:43]
	v_add_f64 v[170:171], v[10:11], v[188:189]
	v_fma_f64 v[8:9], v[4:5], s[20:21], -v[6:7]
	v_fma_f64 v[6:7], v[4:5], s[20:21], v[6:7]
	v_add_f64 v[20:21], v[8:9], v[138:139]
	v_mul_f64 v[8:9], v[32:33], s[42:43]
	v_add_f64 v[16:17], v[6:7], v[136:137]
	;; [unrolled: 5-line block ×3, first 2 shown]
	v_fma_f64 v[8:9], v[4:5], s[12:13], -v[6:7]
	v_fma_f64 v[4:5], v[4:5], s[12:13], v[6:7]
	v_add_f64 v[6:7], v[178:179], v[182:183]
	v_add_f64 v[10:11], v[8:9], v[108:109]
	v_fma_f64 v[8:9], v[22:23], s[12:13], v[12:13]
	v_add_f64 v[4:5], v[4:5], v[0:1]
	v_fma_f64 v[0:1], v[22:23], s[12:13], -v[12:13]
	v_add_f64 v[22:23], v[176:177], -v[168:169]
	v_add_f64 v[12:13], v[178:179], -v[182:183]
	v_add_f64 v[8:9], v[8:9], v[194:195]
	v_add_f64 v[0:1], v[0:1], v[2:3]
	v_mul_f64 v[32:33], v[22:23], s[40:41]
	v_add_f64 v[2:3], v[176:177], v[168:169]
	v_fma_f64 v[34:35], v[6:7], s[36:37], -v[32:33]
	v_fma_f64 v[32:33], v[6:7], s[36:37], v[32:33]
	v_add_f64 v[28:29], v[34:35], v[198:199]
	v_mul_f64 v[34:35], v[12:13], s[40:41]
	v_fma_f64 v[40:41], v[2:3], s[36:37], v[34:35]
	v_add_f64 v[30:31], v[40:41], v[232:233]
	buffer_store_dword v28, off, s[60:63], 0 offset:1568 ; 4-byte Folded Spill
	buffer_store_dword v29, off, s[60:63], 0 offset:1572 ; 4-byte Folded Spill
	;; [unrolled: 1-line block ×4, first 2 shown]
	v_add_f64 v[28:29], v[32:33], v[234:235]
	v_fma_f64 v[32:33], v[2:3], s[36:37], -v[34:35]
	v_add_f64 v[30:31], v[32:33], v[236:237]
	v_mul_f64 v[32:33], v[22:23], s[46:47]
	buffer_store_dword v28, off, s[60:63], 0 offset:1584 ; 4-byte Folded Spill
	buffer_store_dword v29, off, s[60:63], 0 offset:1588 ; 4-byte Folded Spill
	;; [unrolled: 1-line block ×4, first 2 shown]
	v_fma_f64 v[34:35], v[6:7], s[26:27], -v[32:33]
	v_fma_f64 v[32:33], v[6:7], s[26:27], v[32:33]
	v_add_f64 v[28:29], v[34:35], v[132:133]
	v_mul_f64 v[34:35], v[12:13], s[46:47]
	v_mov_b32_e32 v133, v131
	v_mov_b32_e32 v132, v130
	v_fma_f64 v[40:41], v[2:3], s[26:27], v[34:35]
	v_add_f64 v[30:31], v[40:41], v[134:135]
	buffer_store_dword v28, off, s[60:63], 0 offset:1616 ; 4-byte Folded Spill
	buffer_store_dword v29, off, s[60:63], 0 offset:1620 ; 4-byte Folded Spill
	;; [unrolled: 1-line block ×4, first 2 shown]
	v_add_f64 v[28:29], v[32:33], v[56:57]
	v_fma_f64 v[32:33], v[2:3], s[26:27], -v[34:35]
	v_mov_b32_e32 v135, v53
	v_mov_b32_e32 v134, v52
	;; [unrolled: 1-line block ×6, first 2 shown]
	v_add_f64 v[30:31], v[32:33], v[50:51]
	v_mul_f64 v[32:33], v[22:23], s[30:31]
	buffer_store_dword v28, off, s[60:63], 0 offset:1648 ; 4-byte Folded Spill
	buffer_store_dword v29, off, s[60:63], 0 offset:1652 ; 4-byte Folded Spill
	;; [unrolled: 1-line block ×4, first 2 shown]
	v_fma_f64 v[34:35], v[6:7], s[28:29], -v[32:33]
	v_fma_f64 v[32:33], v[6:7], s[28:29], v[32:33]
	v_add_f64 v[28:29], v[34:35], v[68:69]
	v_mul_f64 v[34:35], v[12:13], s[30:31]
	v_fma_f64 v[42:43], v[2:3], s[28:29], v[34:35]
	v_add_f64 v[30:31], v[42:43], v[48:49]
	buffer_store_dword v28, off, s[60:63], 0 offset:1680 ; 4-byte Folded Spill
	buffer_store_dword v29, off, s[60:63], 0 offset:1684 ; 4-byte Folded Spill
	;; [unrolled: 1-line block ×4, first 2 shown]
	v_add_f64 v[30:31], v[32:33], v[144:145]
	v_fma_f64 v[32:33], v[2:3], s[28:29], -v[34:35]
	v_mov_b32_e32 v28, v44
	v_mov_b32_e32 v29, v45
	;; [unrolled: 1-line block ×4, first 2 shown]
	v_add_f64 v[32:33], v[32:33], v[146:147]
	buffer_store_dword v30, off, s[60:63], 0 offset:1696 ; 4-byte Folded Spill
	buffer_store_dword v31, off, s[60:63], 0 offset:1700 ; 4-byte Folded Spill
	;; [unrolled: 1-line block ×4, first 2 shown]
	v_mul_f64 v[32:33], v[22:23], s[42:43]
	v_mov_b32_e32 v30, v46
	v_mov_b32_e32 v31, v47
	v_fma_f64 v[34:35], v[6:7], s[20:21], -v[32:33]
	v_fma_f64 v[32:33], v[6:7], s[20:21], v[32:33]
	v_add_f64 v[152:153], v[34:35], v[152:153]
	v_mul_f64 v[34:35], v[12:13], s[42:43]
	v_add_f64 v[156:157], v[32:33], v[156:157]
	v_fma_f64 v[32:33], v[2:3], s[20:21], -v[34:35]
	v_fma_f64 v[48:49], v[2:3], s[20:21], v[34:35]
	v_add_f64 v[158:159], v[32:33], v[158:159]
	v_mul_f64 v[32:33], v[22:23], s[22:23]
	v_add_f64 v[154:155], v[48:49], v[154:155]
	;; [unrolled: 5-line block ×6, first 2 shown]
	v_fma_f64 v[34:35], v[6:7], s[12:13], -v[32:33]
	v_add_f64 v[180:181], v[34:35], v[20:21]
	v_mul_f64 v[20:21], v[12:13], s[14:15]
	v_fma_f64 v[34:35], v[2:3], s[12:13], v[20:21]
	v_add_f64 v[182:183], v[34:35], v[18:19]
	v_fma_f64 v[18:19], v[6:7], s[12:13], v[32:33]
	v_add_f64 v[184:185], v[18:19], v[16:17]
	v_fma_f64 v[16:17], v[2:3], s[12:13], -v[20:21]
	v_add_f64 v[186:187], v[16:17], v[14:15]
	v_mul_f64 v[14:15], v[22:23], s[34:35]
	v_fma_f64 v[16:17], v[6:7], s[6:7], -v[14:15]
	v_fma_f64 v[6:7], v[6:7], s[6:7], v[14:15]
	v_add_f64 v[188:189], v[16:17], v[10:11]
	v_mul_f64 v[10:11], v[12:13], s[34:35]
	v_add_f64 v[192:193], v[6:7], v[4:5]
	v_add_f64 v[4:5], v[226:227], -v[230:231]
	v_add_f64 v[6:7], v[224:225], -v[228:229]
	v_fma_f64 v[12:13], v[2:3], s[6:7], v[10:11]
	v_fma_f64 v[2:3], v[2:3], s[6:7], -v[10:11]
	v_mul_f64 v[20:21], v[4:5], s[48:49]
	v_mul_f64 v[48:49], v[4:5], s[50:51]
	v_mul_f64 v[60:61], v[4:5], s[44:45]
	v_mul_f64 v[140:141], v[4:5], s[14:15]
	v_mul_f64 v[238:239], v[4:5], s[30:31]
	v_mul_f64 v[16:17], v[6:7], s[48:49]
	v_mul_f64 v[32:33], v[6:7], s[50:51]
	v_mul_f64 v[56:57], v[6:7], s[44:45]
	v_mul_f64 v[64:65], v[6:7], s[14:15]
	v_mul_f64 v[234:235], v[6:7], s[30:31]
	v_add_f64 v[190:191], v[12:13], v[8:9]
	v_add_f64 v[194:195], v[2:3], v[0:1]
	;; [unrolled: 1-line block ×4, first 2 shown]
	v_mul_f64 v[12:13], v[4:5], s[38:39]
	v_mul_f64 v[8:9], v[6:7], s[38:39]
	v_add_f64 v[0:1], v[0:1], v[216:217]
	v_add_f64 v[2:3], v[2:3], v[214:215]
	;; [unrolled: 1-line block ×32, first 2 shown]
	v_mul_f64 v[230:231], v[4:5], s[22:23]
	v_mul_f64 v[4:5], v[4:5], s[40:41]
	;; [unrolled: 1-line block ×4, first 2 shown]
	v_fma_f64 v[10:11], v[0:1], s[26:27], -v[8:9]
	v_fma_f64 v[14:15], v[2:3], s[26:27], v[12:13]
	v_fma_f64 v[12:13], v[2:3], s[26:27], -v[12:13]
	v_fma_f64 v[22:23], v[2:3], s[20:21], v[20:21]
	v_fma_f64 v[20:21], v[2:3], s[20:21], -v[20:21]
	v_fma_f64 v[50:51], v[2:3], s[16:17], v[48:49]
	v_fma_f64 v[48:49], v[2:3], s[16:17], -v[48:49]
	v_fma_f64 v[62:63], v[2:3], s[6:7], v[60:61]
	v_fma_f64 v[60:61], v[2:3], s[6:7], -v[60:61]
	v_fma_f64 v[224:225], v[2:3], s[12:13], v[140:141]
	v_fma_f64 v[140:141], v[2:3], s[12:13], -v[140:141]
	v_fma_f64 v[232:233], v[2:3], s[18:19], v[230:231]
	v_fma_f64 v[230:231], v[2:3], s[18:19], -v[230:231]
	v_fma_f64 v[240:241], v[2:3], s[28:29], v[238:239]
	v_fma_f64 v[238:239], v[2:3], s[28:29], -v[238:239]
	v_fma_f64 v[244:245], v[2:3], s[36:37], v[4:5]
	v_fma_f64 v[2:3], v[2:3], s[36:37], -v[4:5]
	v_fma_f64 v[8:9], v[0:1], s[26:27], v[8:9]
	v_fma_f64 v[18:19], v[0:1], s[20:21], -v[16:17]
	v_fma_f64 v[16:17], v[0:1], s[20:21], v[16:17]
	v_fma_f64 v[34:35], v[0:1], s[16:17], -v[32:33]
	v_fma_f64 v[32:33], v[0:1], s[16:17], v[32:33]
	v_fma_f64 v[58:59], v[0:1], s[6:7], -v[56:57]
	v_add_f64 v[14:15], v[78:79], v[14:15]
	v_add_f64 v[12:13], v[78:79], v[12:13]
	;; [unrolled: 1-line block ×16, first 2 shown]
	v_add_f64 v[78:79], v[214:215], -v[220:221]
	v_fma_f64 v[56:57], v[0:1], s[6:7], v[56:57]
	v_fma_f64 v[68:69], v[0:1], s[12:13], -v[64:65]
	v_fma_f64 v[64:65], v[0:1], s[12:13], v[64:65]
	v_fma_f64 v[228:229], v[0:1], s[18:19], -v[226:227]
	;; [unrolled: 2-line block ×4, first 2 shown]
	v_fma_f64 v[0:1], v[0:1], s[36:37], v[6:7]
	v_add_f64 v[4:5], v[216:217], v[222:223]
	v_add_f64 v[6:7], v[214:215], v[220:221]
	v_add_f64 v[10:11], v[76:77], v[10:11]
	v_add_f64 v[8:9], v[76:77], v[8:9]
	v_add_f64 v[18:19], v[76:77], v[18:19]
	v_add_f64 v[16:17], v[76:77], v[16:17]
	v_add_f64 v[34:35], v[76:77], v[34:35]
	v_add_f64 v[32:33], v[76:77], v[32:33]
	v_add_f64 v[58:59], v[76:77], v[58:59]
	v_mul_f64 v[214:215], v[78:79], s[48:49]
	v_add_f64 v[56:57], v[76:77], v[56:57]
	v_add_f64 v[68:69], v[76:77], v[68:69]
	;; [unrolled: 1-line block ×9, first 2 shown]
	v_add_f64 v[76:77], v[216:217], -v[222:223]
	v_fma_f64 v[216:217], v[4:5], s[20:21], -v[214:215]
	v_fma_f64 v[214:215], v[4:5], s[20:21], v[214:215]
	v_mul_f64 v[222:223], v[76:77], s[52:53]
	v_add_f64 v[10:11], v[216:217], v[10:11]
	v_mul_f64 v[216:217], v[76:77], s[48:49]
	v_add_f64 v[8:9], v[214:215], v[8:9]
	v_fma_f64 v[214:215], v[6:7], s[20:21], -v[216:217]
	v_fma_f64 v[220:221], v[6:7], s[20:21], v[216:217]
	v_add_f64 v[12:13], v[214:215], v[12:13]
	v_mul_f64 v[214:215], v[78:79], s[44:45]
	v_add_f64 v[14:15], v[220:221], v[14:15]
	v_fma_f64 v[216:217], v[4:5], s[6:7], -v[214:215]
	v_fma_f64 v[214:215], v[4:5], s[6:7], v[214:215]
	;; [unrolled: 5-line block ×9, first 2 shown]
	v_add_f64 v[140:141], v[214:215], v[140:141]
	v_mul_f64 v[214:215], v[78:79], s[52:53]
	v_add_f64 v[220:221], v[220:221], v[224:225]
	v_fma_f64 v[224:225], v[6:7], s[12:13], v[222:223]
	v_fma_f64 v[222:223], v[6:7], s[12:13], -v[222:223]
	v_fma_f64 v[216:217], v[4:5], s[12:13], -v[214:215]
	v_fma_f64 v[214:215], v[4:5], s[12:13], v[214:215]
	v_add_f64 v[224:225], v[224:225], v[232:233]
	v_add_f64 v[222:223], v[222:223], v[230:231]
	v_mul_f64 v[230:231], v[76:77], s[24:25]
	v_mul_f64 v[76:77], v[76:77], s[46:47]
	v_add_f64 v[216:217], v[216:217], v[228:229]
	v_add_f64 v[214:215], v[214:215], v[226:227]
	v_mul_f64 v[226:227], v[78:79], s[24:25]
	v_mul_f64 v[78:79], v[78:79], s[46:47]
	v_fma_f64 v[232:233], v[6:7], s[16:17], v[230:231]
	v_fma_f64 v[230:231], v[6:7], s[16:17], -v[230:231]
	v_fma_f64 v[228:229], v[4:5], s[16:17], -v[226:227]
	v_fma_f64 v[226:227], v[4:5], s[16:17], v[226:227]
	v_add_f64 v[232:233], v[232:233], v[240:241]
	v_add_f64 v[230:231], v[230:231], v[238:239]
	v_add_f64 v[238:239], v[120:121], -v[96:97]
	v_add_f64 v[228:229], v[228:229], v[236:237]
	v_add_f64 v[226:227], v[226:227], v[234:235]
	v_fma_f64 v[234:235], v[4:5], s[26:27], -v[78:79]
	v_fma_f64 v[4:5], v[4:5], s[26:27], v[78:79]
	v_add_f64 v[78:79], v[248:249], -v[210:211]
	v_fma_f64 v[236:237], v[6:7], s[26:27], v[76:77]
	v_add_f64 v[234:235], v[234:235], v[242:243]
	v_add_f64 v[0:1], v[4:5], v[0:1]
	v_fma_f64 v[4:5], v[6:7], s[26:27], -v[76:77]
	v_add_f64 v[6:7], v[248:249], v[210:211]
	v_mul_f64 v[210:211], v[78:79], s[50:51]
	v_add_f64 v[76:77], v[212:213], -v[218:219]
	v_add_f64 v[236:237], v[236:237], v[244:245]
	v_add_f64 v[2:3], v[4:5], v[2:3]
	;; [unrolled: 1-line block ×3, first 2 shown]
	v_fma_f64 v[212:213], v[4:5], s[16:17], -v[210:211]
	v_fma_f64 v[210:211], v[4:5], s[16:17], v[210:211]
	v_add_f64 v[10:11], v[212:213], v[10:11]
	v_mul_f64 v[212:213], v[76:77], s[50:51]
	v_add_f64 v[8:9], v[210:211], v[8:9]
	v_fma_f64 v[210:211], v[6:7], s[16:17], -v[212:213]
	v_fma_f64 v[218:219], v[6:7], s[16:17], v[212:213]
	v_add_f64 v[12:13], v[210:211], v[12:13]
	v_mul_f64 v[210:211], v[78:79], s[22:23]
	v_add_f64 v[14:15], v[218:219], v[14:15]
	;; [unrolled: 5-line block ×11, first 2 shown]
	v_fma_f64 v[220:221], v[6:7], s[26:27], v[216:217]
	v_fma_f64 v[214:215], v[6:7], s[26:27], -v[216:217]
	v_mul_f64 v[216:217], v[78:79], s[44:45]
	v_mul_f64 v[78:79], v[78:79], s[30:31]
	v_add_f64 v[220:221], v[220:221], v[224:225]
	v_add_f64 v[214:215], v[214:215], v[222:223]
	v_fma_f64 v[222:223], v[4:5], s[6:7], -v[216:217]
	v_fma_f64 v[216:217], v[4:5], s[6:7], v[216:217]
	v_mul_f64 v[224:225], v[76:77], s[44:45]
	v_mul_f64 v[76:77], v[76:77], s[30:31]
	v_add_f64 v[222:223], v[222:223], v[228:229]
	v_add_f64 v[216:217], v[216:217], v[226:227]
	v_fma_f64 v[226:227], v[4:5], s[28:29], -v[78:79]
	v_fma_f64 v[4:5], v[4:5], s[28:29], v[78:79]
	v_fma_f64 v[228:229], v[6:7], s[6:7], v[224:225]
	v_fma_f64 v[224:225], v[6:7], s[6:7], -v[224:225]
	v_add_f64 v[78:79], v[174:175], -v[202:203]
	v_add_f64 v[226:227], v[226:227], v[234:235]
	v_add_f64 v[0:1], v[4:5], v[0:1]
	v_fma_f64 v[4:5], v[6:7], s[28:29], -v[76:77]
	v_add_f64 v[224:225], v[224:225], v[230:231]
	v_fma_f64 v[230:231], v[6:7], s[28:29], v[76:77]
	v_add_f64 v[6:7], v[174:175], v[202:203]
	v_mul_f64 v[174:175], v[78:79], s[44:45]
	v_add_f64 v[76:77], v[246:247], -v[250:251]
	v_add_f64 v[228:229], v[228:229], v[232:233]
	v_add_f64 v[234:235], v[120:121], v[96:97]
	;; [unrolled: 1-line block ×5, first 2 shown]
	v_add_f64 v[236:237], v[122:123], -v[124:125]
	v_fma_f64 v[202:203], v[4:5], s[6:7], -v[174:175]
	v_fma_f64 v[174:175], v[4:5], s[6:7], v[174:175]
	v_add_f64 v[10:11], v[202:203], v[10:11]
	v_mul_f64 v[202:203], v[76:77], s[44:45]
	v_add_f64 v[8:9], v[174:175], v[8:9]
	v_fma_f64 v[174:175], v[6:7], s[6:7], -v[202:203]
	v_fma_f64 v[232:233], v[6:7], s[6:7], v[202:203]
	v_add_f64 v[12:13], v[174:175], v[12:13]
	v_mul_f64 v[174:175], v[78:79], s[40:41]
	v_add_f64 v[14:15], v[232:233], v[14:15]
	;; [unrolled: 5-line block ×11, first 2 shown]
	v_fma_f64 v[232:233], v[6:7], s[28:29], v[212:213]
	v_fma_f64 v[210:211], v[6:7], s[28:29], -v[212:213]
	v_mul_f64 v[212:213], v[78:79], s[56:57]
	v_mul_f64 v[78:79], v[78:79], s[42:43]
	v_add_f64 v[220:221], v[232:233], v[220:221]
	v_add_f64 v[210:211], v[210:211], v[214:215]
	v_fma_f64 v[214:215], v[4:5], s[18:19], -v[212:213]
	v_fma_f64 v[212:213], v[4:5], s[18:19], v[212:213]
	v_add_f64 v[214:215], v[214:215], v[222:223]
	v_mul_f64 v[222:223], v[76:77], s[56:57]
	v_add_f64 v[212:213], v[212:213], v[216:217]
	v_mul_f64 v[76:77], v[76:77], s[42:43]
	v_fma_f64 v[232:233], v[6:7], s[18:19], v[222:223]
	v_fma_f64 v[216:217], v[6:7], s[18:19], -v[222:223]
	v_fma_f64 v[222:223], v[4:5], s[20:21], -v[78:79]
	v_fma_f64 v[4:5], v[4:5], s[20:21], v[78:79]
	v_add_f64 v[78:79], v[150:151], -v[94:95]
	v_add_f64 v[228:229], v[232:233], v[228:229]
	v_add_f64 v[216:217], v[216:217], v[224:225]
	v_fma_f64 v[224:225], v[6:7], s[20:21], v[76:77]
	v_add_f64 v[0:1], v[4:5], v[0:1]
	v_fma_f64 v[4:5], v[6:7], s[20:21], -v[76:77]
	v_add_f64 v[6:7], v[150:151], v[94:95]
	v_mul_f64 v[94:95], v[78:79], s[14:15]
	v_add_f64 v[76:77], v[172:173], -v[200:201]
	v_add_f64 v[222:223], v[222:223], v[226:227]
	v_add_f64 v[232:233], v[122:123], v[124:125]
	;; [unrolled: 1-line block ×5, first 2 shown]
	v_mul_f64 v[200:201], v[76:77], s[34:35]
	v_fma_f64 v[150:151], v[4:5], s[12:13], -v[94:95]
	v_fma_f64 v[94:95], v[4:5], s[12:13], v[94:95]
	v_add_f64 v[10:11], v[150:151], v[10:11]
	v_mul_f64 v[150:151], v[76:77], s[14:15]
	v_add_f64 v[8:9], v[94:95], v[8:9]
	v_fma_f64 v[94:95], v[6:7], s[12:13], -v[150:151]
	v_fma_f64 v[172:173], v[6:7], s[12:13], v[150:151]
	v_add_f64 v[12:13], v[94:95], v[12:13]
	v_mul_f64 v[94:95], v[78:79], s[54:55]
	v_add_f64 v[14:15], v[172:173], v[14:15]
	v_fma_f64 v[150:151], v[4:5], s[28:29], -v[94:95]
	v_fma_f64 v[94:95], v[4:5], s[28:29], v[94:95]
	v_add_f64 v[18:19], v[150:151], v[18:19]
	v_mul_f64 v[150:151], v[76:77], s[54:55]
	v_add_f64 v[16:17], v[94:95], v[16:17]
	v_fma_f64 v[94:95], v[6:7], s[28:29], -v[150:151]
	v_fma_f64 v[172:173], v[6:7], s[28:29], v[150:151]
	v_add_f64 v[20:21], v[94:95], v[20:21]
	v_mul_f64 v[94:95], v[78:79], s[42:43]
	v_add_f64 v[22:23], v[172:173], v[22:23]
	v_fma_f64 v[150:151], v[4:5], s[20:21], -v[94:95]
	v_fma_f64 v[94:95], v[4:5], s[20:21], v[94:95]
	v_add_f64 v[34:35], v[150:151], v[34:35]
	v_mul_f64 v[150:151], v[76:77], s[42:43]
	v_add_f64 v[32:33], v[94:95], v[32:33]
	v_fma_f64 v[94:95], v[6:7], s[20:21], -v[150:151]
	v_fma_f64 v[172:173], v[6:7], s[20:21], v[150:151]
	v_add_f64 v[48:49], v[94:95], v[48:49]
	v_mul_f64 v[94:95], v[78:79], s[50:51]
	v_add_f64 v[50:51], v[172:173], v[50:51]
	v_fma_f64 v[150:151], v[4:5], s[16:17], -v[94:95]
	v_fma_f64 v[94:95], v[4:5], s[16:17], v[94:95]
	v_add_f64 v[58:59], v[150:151], v[58:59]
	v_mul_f64 v[150:151], v[76:77], s[50:51]
	v_add_f64 v[56:57], v[94:95], v[56:57]
	v_fma_f64 v[94:95], v[6:7], s[16:17], -v[150:151]
	v_fma_f64 v[172:173], v[6:7], s[16:17], v[150:151]
	v_add_f64 v[60:61], v[94:95], v[60:61]
	v_mul_f64 v[94:95], v[78:79], s[40:41]
	v_add_f64 v[62:63], v[172:173], v[62:63]
	v_fma_f64 v[150:151], v[4:5], s[36:37], -v[94:95]
	v_fma_f64 v[94:95], v[4:5], s[36:37], v[94:95]
	v_add_f64 v[68:69], v[150:151], v[68:69]
	v_mul_f64 v[150:151], v[76:77], s[40:41]
	v_add_f64 v[64:65], v[94:95], v[64:65]
	v_fma_f64 v[94:95], v[6:7], s[36:37], -v[150:151]
	v_fma_f64 v[172:173], v[6:7], s[36:37], v[150:151]
	v_add_f64 v[94:95], v[94:95], v[140:141]
	v_mul_f64 v[140:141], v[78:79], s[34:35]
	v_add_f64 v[172:173], v[172:173], v[218:219]
	v_fma_f64 v[150:151], v[4:5], s[6:7], -v[140:141]
	v_fma_f64 v[140:141], v[4:5], s[6:7], v[140:141]
	v_add_f64 v[150:151], v[150:151], v[202:203]
	v_fma_f64 v[202:203], v[6:7], s[6:7], v[200:201]
	v_add_f64 v[140:141], v[140:141], v[174:175]
	v_fma_f64 v[174:175], v[6:7], s[6:7], -v[200:201]
	v_mul_f64 v[200:201], v[78:79], s[38:39]
	v_mul_f64 v[78:79], v[78:79], s[22:23]
	v_add_f64 v[202:203], v[202:203], v[220:221]
	v_add_f64 v[174:175], v[174:175], v[210:211]
	v_fma_f64 v[210:211], v[4:5], s[26:27], -v[200:201]
	v_fma_f64 v[200:201], v[4:5], s[26:27], v[200:201]
	v_add_f64 v[210:211], v[210:211], v[214:215]
	v_mul_f64 v[214:215], v[76:77], s[38:39]
	v_add_f64 v[200:201], v[200:201], v[212:213]
	v_mul_f64 v[76:77], v[76:77], s[22:23]
	v_fma_f64 v[218:219], v[6:7], s[26:27], v[214:215]
	v_fma_f64 v[212:213], v[6:7], s[26:27], -v[214:215]
	v_fma_f64 v[214:215], v[4:5], s[18:19], -v[78:79]
	v_fma_f64 v[4:5], v[4:5], s[18:19], v[78:79]
	v_add_f64 v[78:79], v[126:127], -v[92:93]
	v_add_f64 v[218:219], v[218:219], v[228:229]
	v_add_f64 v[212:213], v[212:213], v[216:217]
	v_fma_f64 v[216:217], v[6:7], s[18:19], v[76:77]
	v_add_f64 v[0:1], v[4:5], v[0:1]
	v_fma_f64 v[4:5], v[6:7], s[18:19], -v[76:77]
	v_add_f64 v[6:7], v[126:127], v[92:93]
	v_mul_f64 v[92:93], v[78:79], s[22:23]
	v_add_f64 v[76:77], v[148:149], -v[98:99]
	v_add_f64 v[214:215], v[214:215], v[222:223]
	v_add_f64 v[216:217], v[216:217], v[224:225]
	;; [unrolled: 1-line block ×4, first 2 shown]
	v_fma_f64 v[98:99], v[4:5], s[18:19], -v[92:93]
	v_fma_f64 v[92:93], v[4:5], s[18:19], v[92:93]
	v_add_f64 v[10:11], v[98:99], v[10:11]
	v_mul_f64 v[98:99], v[76:77], s[22:23]
	v_add_f64 v[8:9], v[92:93], v[8:9]
	v_fma_f64 v[92:93], v[6:7], s[18:19], -v[98:99]
	v_fma_f64 v[126:127], v[6:7], s[18:19], v[98:99]
	v_add_f64 v[12:13], v[92:93], v[12:13]
	v_mul_f64 v[92:93], v[78:79], s[52:53]
	v_add_f64 v[14:15], v[126:127], v[14:15]
	;; [unrolled: 5-line block ×4, first 2 shown]
	v_fma_f64 v[98:99], v[4:5], s[26:27], -v[92:93]
	v_add_f64 v[34:35], v[98:99], v[34:35]
	v_mul_f64 v[98:99], v[76:77], s[38:39]
	v_fma_f64 v[126:127], v[6:7], s[26:27], v[98:99]
	v_add_f64 v[126:127], v[126:127], v[50:51]
	v_fma_f64 v[50:51], v[4:5], s[26:27], v[92:93]
	v_add_f64 v[32:33], v[50:51], v[32:33]
	v_fma_f64 v[50:51], v[6:7], s[26:27], -v[98:99]
	v_add_f64 v[92:93], v[50:51], v[48:49]
	v_mul_f64 v[48:49], v[78:79], s[30:31]
	v_fma_f64 v[50:51], v[4:5], s[28:29], -v[48:49]
	v_fma_f64 v[48:49], v[4:5], s[28:29], v[48:49]
	v_add_f64 v[98:99], v[50:51], v[58:59]
	v_mul_f64 v[50:51], v[76:77], s[30:31]
	v_add_f64 v[220:221], v[48:49], v[56:57]
	v_fma_f64 v[48:49], v[6:7], s[28:29], -v[50:51]
	v_fma_f64 v[58:59], v[6:7], s[28:29], v[50:51]
	v_add_f64 v[222:223], v[48:49], v[60:61]
	v_mul_f64 v[48:49], v[78:79], s[34:35]
	v_add_f64 v[62:63], v[58:59], v[62:63]
	;; [unrolled: 5-line block ×9, first 2 shown]
	v_fma_f64 v[56:57], v[6:7], s[16:17], v[50:51]
	v_fma_f64 v[0:1], v[6:7], s[16:17], -v[50:51]
	v_mul_f64 v[6:7], v[236:237], s[40:41]
	v_add_f64 v[76:77], v[56:57], v[216:217]
	v_add_f64 v[216:217], v[0:1], v[2:3]
	v_mul_f64 v[0:1], v[238:239], s[30:31]
	v_fma_f64 v[2:3], v[232:233], s[28:29], -v[0:1]
	v_fma_f64 v[0:1], v[232:233], s[28:29], v[0:1]
	v_add_f64 v[240:241], v[2:3], v[10:11]
	v_mul_f64 v[2:3], v[236:237], s[30:31]
	v_add_f64 v[244:245], v[0:1], v[8:9]
	v_fma_f64 v[0:1], v[234:235], s[28:29], -v[2:3]
	v_fma_f64 v[4:5], v[234:235], s[28:29], v[2:3]
	v_add_f64 v[246:247], v[0:1], v[12:13]
	v_mul_f64 v[0:1], v[238:239], s[24:25]
	v_add_f64 v[242:243], v[4:5], v[14:15]
	v_mul_f64 v[14:15], v[236:237], s[42:43]
	v_mul_f64 v[12:13], v[238:239], s[42:43]
	v_fma_f64 v[2:3], v[232:233], s[16:17], -v[0:1]
	v_fma_f64 v[0:1], v[232:233], s[16:17], v[0:1]
	v_fma_f64 v[10:11], v[234:235], s[20:21], v[14:15]
	v_fma_f64 v[14:15], v[234:235], s[20:21], -v[14:15]
	v_fma_f64 v[8:9], v[232:233], s[20:21], -v[12:13]
	v_fma_f64 v[12:13], v[232:233], s[20:21], v[12:13]
	v_add_f64 v[60:61], v[2:3], v[18:19]
	v_mul_f64 v[2:3], v[236:237], s[24:25]
	v_add_f64 v[56:57], v[0:1], v[16:17]
	v_add_f64 v[14:15], v[14:15], v[212:213]
	;; [unrolled: 1-line block ×5, first 2 shown]
	v_fma_f64 v[0:1], v[234:235], s[16:17], -v[2:3]
	v_fma_f64 v[4:5], v[234:235], s[16:17], v[2:3]
	v_add_f64 v[50:51], v[0:1], v[20:21]
	v_mul_f64 v[0:1], v[238:239], s[44:45]
	v_add_f64 v[58:59], v[4:5], v[22:23]
	v_mul_f64 v[20:21], v[238:239], s[14:15]
	v_mul_f64 v[22:23], v[236:237], s[14:15]
	v_fma_f64 v[2:3], v[232:233], s[6:7], -v[0:1]
	v_fma_f64 v[0:1], v[232:233], s[6:7], v[0:1]
	v_fma_f64 v[16:17], v[232:233], s[12:13], -v[20:21]
	v_fma_f64 v[18:19], v[234:235], s[12:13], v[22:23]
	v_fma_f64 v[20:21], v[232:233], s[12:13], v[20:21]
	v_fma_f64 v[22:23], v[234:235], s[12:13], -v[22:23]
	v_add_f64 v[68:69], v[2:3], v[34:35]
	v_mul_f64 v[2:3], v[236:237], s[44:45]
	v_add_f64 v[174:175], v[0:1], v[32:33]
	v_add_f64 v[16:17], v[16:17], v[78:79]
	v_add_f64 v[18:19], v[18:19], v[76:77]
	v_add_f64 v[78:79], v[116:117], v[118:119]
	v_add_f64 v[76:77], v[112:113], v[114:115]
	v_add_f64 v[20:21], v[20:21], v[214:215]
	v_add_f64 v[22:23], v[22:23], v[216:217]
	v_fma_f64 v[0:1], v[234:235], s[6:7], -v[2:3]
	v_fma_f64 v[4:5], v[234:235], s[6:7], v[2:3]
	v_add_f64 v[172:173], v[0:1], v[92:93]
	v_mul_f64 v[0:1], v[238:239], s[56:57]
	v_add_f64 v[48:49], v[4:5], v[126:127]
	v_add_f64 v[92:93], v[116:117], -v[118:119]
	v_fma_f64 v[2:3], v[232:233], s[18:19], -v[0:1]
	v_fma_f64 v[0:1], v[232:233], s[18:19], v[0:1]
	v_add_f64 v[150:151], v[2:3], v[98:99]
	v_mul_f64 v[2:3], v[236:237], s[56:57]
	v_add_f64 v[126:127], v[0:1], v[220:221]
	v_fma_f64 v[0:1], v[234:235], s[18:19], -v[2:3]
	v_fma_f64 v[4:5], v[234:235], s[18:19], v[2:3]
	v_add_f64 v[124:125], v[0:1], v[222:223]
	v_mul_f64 v[0:1], v[238:239], s[38:39]
	v_add_f64 v[148:149], v[4:5], v[62:63]
	;; [unrolled: 5-line block ×3, first 2 shown]
	v_fma_f64 v[0:1], v[234:235], s[26:27], -v[2:3]
	v_fma_f64 v[4:5], v[234:235], s[26:27], v[2:3]
	v_fma_f64 v[2:3], v[234:235], s[36:37], v[6:7]
	v_fma_f64 v[6:7], v[234:235], s[36:37], -v[6:7]
	v_add_f64 v[96:97], v[0:1], v[94:95]
	v_add_f64 v[94:95], v[112:113], -v[114:115]
	v_add_f64 v[120:121], v[4:5], v[226:227]
	v_mul_f64 v[4:5], v[238:239], s[40:41]
	v_add_f64 v[6:7], v[6:7], v[230:231]
	v_add_f64 v[2:3], v[2:3], v[202:203]
	v_mul_f64 v[112:113], v[94:95], s[46:47]
	v_mul_f64 v[32:33], v[94:95], s[40:41]
	v_fma_f64 v[0:1], v[232:233], s[36:37], -v[4:5]
	v_fma_f64 v[4:5], v[232:233], s[36:37], v[4:5]
	v_fma_f64 v[114:115], v[78:79], s[26:27], -v[112:113]
	v_fma_f64 v[34:35], v[78:79], s[36:37], -v[32:33]
	v_add_f64 v[0:1], v[0:1], v[228:229]
	v_add_f64 v[4:5], v[4:5], v[140:141]
	v_fma_f64 v[32:33], v[78:79], s[36:37], v[32:33]
	v_add_f64 v[212:213], v[114:115], v[60:61]
	v_mul_f64 v[60:61], v[92:93], s[46:47]
	v_add_f64 v[62:63], v[34:35], v[240:241]
	v_mul_f64 v[34:35], v[92:93], s[40:41]
	v_add_f64 v[32:33], v[32:33], v[244:245]
	v_fma_f64 v[114:115], v[76:77], s[26:27], v[60:61]
	v_fma_f64 v[64:65], v[76:77], s[36:37], v[34:35]
	v_fma_f64 v[34:35], v[76:77], s[36:37], -v[34:35]
	v_add_f64 v[214:215], v[114:115], v[58:59]
	v_fma_f64 v[58:59], v[78:79], s[26:27], v[112:113]
	v_add_f64 v[64:65], v[64:65], v[242:243]
	v_add_f64 v[34:35], v[34:35], v[246:247]
	;; [unrolled: 1-line block ×3, first 2 shown]
	v_fma_f64 v[56:57], v[76:77], s[26:27], -v[60:61]
	v_add_f64 v[218:219], v[56:57], v[50:51]
	v_mul_f64 v[50:51], v[94:95], s[30:31]
	v_fma_f64 v[56:57], v[78:79], s[28:29], -v[50:51]
	v_add_f64 v[224:225], v[56:57], v[68:69]
	v_mul_f64 v[56:57], v[92:93], s[30:31]
	v_fma_f64 v[58:59], v[76:77], s[28:29], v[56:57]
	v_add_f64 v[226:227], v[58:59], v[48:49]
	v_fma_f64 v[48:49], v[78:79], s[28:29], v[50:51]
	v_add_f64 v[228:229], v[48:49], v[174:175]
	v_fma_f64 v[48:49], v[76:77], s[28:29], -v[56:57]
	v_add_f64 v[230:231], v[48:49], v[172:173]
	v_mul_f64 v[48:49], v[94:95], s[42:43]
	v_fma_f64 v[50:51], v[78:79], s[20:21], -v[48:49]
	v_fma_f64 v[48:49], v[78:79], s[20:21], v[48:49]
	v_add_f64 v[232:233], v[50:51], v[150:151]
	v_mul_f64 v[50:51], v[92:93], s[42:43]
	v_add_f64 v[236:237], v[48:49], v[126:127]
	v_fma_f64 v[48:49], v[76:77], s[20:21], -v[50:51]
	v_fma_f64 v[56:57], v[76:77], s[20:21], v[50:51]
	v_add_f64 v[238:239], v[48:49], v[124:125]
	v_mul_f64 v[48:49], v[94:95], s[22:23]
	v_add_f64 v[234:235], v[56:57], v[148:149]
	;; [unrolled: 5-line block ×9, first 2 shown]
	v_fma_f64 v[48:49], v[76:77], s[6:7], -v[50:51]
	v_fma_f64 v[56:57], v[76:77], s[6:7], v[50:51]
	v_add_f64 v[50:51], v[88:89], v[36:37]
	v_add_f64 v[22:23], v[48:49], v[22:23]
	;; [unrolled: 1-line block ×3, first 2 shown]
	buffer_store_dword v104, off, s[60:63], 0 offset:1728 ; 4-byte Folded Spill
	buffer_store_dword v105, off, s[60:63], 0 offset:1732 ; 4-byte Folded Spill
	;; [unrolled: 1-line block ×4, first 2 shown]
	v_add_f64 v[18:19], v[56:57], v[18:19]
	v_add_f64 v[56:57], v[104:105], -v[66:67]
	s_clause 0x1
	buffer_load_dword v104, off, s[60:63], 0 offset:1712
	buffer_load_dword v105, off, s[60:63], 0 offset:1716
	buffer_store_dword v88, off, s[60:63], 0 offset:1760 ; 4-byte Folded Spill
	buffer_store_dword v89, off, s[60:63], 0 offset:1764 ; 4-byte Folded Spill
	;; [unrolled: 1-line block ×4, first 2 shown]
	v_mul_f64 v[76:77], v[56:57], s[38:39]
	v_mul_f64 v[96:97], v[56:57], s[48:49]
	;; [unrolled: 1-line block ×8, first 2 shown]
	v_fma_f64 v[78:79], v[50:51], s[26:27], v[76:77]
	v_fma_f64 v[76:77], v[50:51], s[26:27], -v[76:77]
	v_fma_f64 v[98:99], v[50:51], s[20:21], v[96:97]
	v_fma_f64 v[96:97], v[50:51], s[20:21], -v[96:97]
	v_fma_f64 v[118:119], v[50:51], s[16:17], v[116:117]
	v_fma_f64 v[116:117], v[50:51], s[16:17], -v[116:117]
	v_fma_f64 v[126:127], v[50:51], s[6:7], v[124:125]
	v_fma_f64 v[124:125], v[50:51], s[6:7], -v[124:125]
	v_fma_f64 v[172:173], v[50:51], s[12:13], v[150:151]
	v_fma_f64 v[150:151], v[50:51], s[12:13], -v[150:151]
	v_fma_f64 v[210:211], v[50:51], s[18:19], v[202:203]
	v_fma_f64 v[202:203], v[50:51], s[18:19], -v[202:203]
	v_fma_f64 v[246:247], v[50:51], s[28:29], v[244:245]
	v_fma_f64 v[244:245], v[50:51], s[28:29], -v[244:245]
	v_fma_f64 v[250:251], v[50:51], s[36:37], v[56:57]
	v_fma_f64 v[50:51], v[50:51], s[36:37], -v[56:57]
	v_add_f64 v[78:79], v[102:103], v[78:79]
	v_add_f64 v[76:77], v[102:103], v[76:77]
	;; [unrolled: 1-line block ×16, first 2 shown]
	v_add_f64 v[58:59], v[88:89], -v[36:37]
	s_waitcnt vmcnt(0)
	v_add_f64 v[56:57], v[104:105], v[70:71]
	buffer_store_dword v70, off, s[60:63], 0 offset:2088 ; 4-byte Folded Spill
	buffer_store_dword v71, off, s[60:63], 0 offset:2092 ; 4-byte Folded Spill
	v_mul_f64 v[60:61], v[58:59], s[38:39]
	v_mul_f64 v[92:93], v[58:59], s[48:49]
	;; [unrolled: 1-line block ×8, first 2 shown]
	v_fma_f64 v[68:69], v[48:49], s[26:27], -v[60:61]
	v_fma_f64 v[60:61], v[48:49], s[26:27], v[60:61]
	v_fma_f64 v[94:95], v[48:49], s[20:21], -v[92:93]
	v_fma_f64 v[92:93], v[48:49], s[20:21], v[92:93]
	v_fma_f64 v[114:115], v[48:49], s[16:17], -v[112:113]
	v_fma_f64 v[112:113], v[48:49], s[16:17], v[112:113]
	v_fma_f64 v[122:123], v[48:49], s[6:7], -v[120:121]
	v_fma_f64 v[120:121], v[48:49], s[6:7], v[120:121]
	v_fma_f64 v[148:149], v[48:49], s[12:13], -v[140:141]
	v_fma_f64 v[140:141], v[48:49], s[12:13], v[140:141]
	v_fma_f64 v[200:201], v[48:49], s[18:19], -v[174:175]
	v_fma_f64 v[174:175], v[48:49], s[18:19], v[174:175]
	v_fma_f64 v[222:223], v[48:49], s[28:29], -v[220:221]
	v_fma_f64 v[220:221], v[48:49], s[28:29], v[220:221]
	v_fma_f64 v[248:249], v[48:49], s[36:37], -v[58:59]
	v_fma_f64 v[48:49], v[48:49], s[36:37], v[58:59]
	v_add_f64 v[58:59], v[84:85], v[72:73]
	buffer_store_dword v84, off, s[60:63], 0 offset:1744 ; 4-byte Folded Spill
	buffer_store_dword v85, off, s[60:63], 0 offset:1748 ; 4-byte Folded Spill
	;; [unrolled: 1-line block ×4, first 2 shown]
	v_add_f64 v[68:69], v[100:101], v[68:69]
	v_add_f64 v[60:61], v[100:101], v[60:61]
	;; [unrolled: 1-line block ×16, first 2 shown]
	v_add_f64 v[70:71], v[104:105], -v[70:71]
	v_add_f64 v[44:45], v[84:85], -v[72:73]
	v_mul_f64 v[46:47], v[44:45], s[48:49]
	v_fma_f64 v[52:53], v[56:57], s[20:21], -v[46:47]
	v_fma_f64 v[46:47], v[56:57], s[20:21], v[46:47]
	v_add_f64 v[52:53], v[52:53], v[68:69]
	v_mul_f64 v[68:69], v[70:71], s[48:49]
	v_add_f64 v[46:47], v[46:47], v[60:61]
	v_fma_f64 v[54:55], v[58:59], s[20:21], v[68:69]
	v_fma_f64 v[60:61], v[58:59], s[20:21], -v[68:69]
	v_mul_f64 v[68:69], v[44:45], s[44:45]
	v_add_f64 v[54:55], v[54:55], v[78:79]
	v_add_f64 v[60:61], v[60:61], v[76:77]
	v_fma_f64 v[76:77], v[56:57], s[6:7], -v[68:69]
	v_mul_f64 v[78:79], v[70:71], s[44:45]
	v_fma_f64 v[68:69], v[56:57], s[6:7], v[68:69]
	v_add_f64 v[76:77], v[76:77], v[94:95]
	v_fma_f64 v[94:95], v[58:59], s[6:7], v[78:79]
	v_add_f64 v[68:69], v[68:69], v[92:93]
	v_fma_f64 v[78:79], v[58:59], s[6:7], -v[78:79]
	v_mul_f64 v[92:93], v[44:45], s[22:23]
	v_add_f64 v[94:95], v[94:95], v[98:99]
	v_mul_f64 v[98:99], v[70:71], s[22:23]
	v_add_f64 v[78:79], v[78:79], v[96:97]
	v_fma_f64 v[96:97], v[56:57], s[18:19], -v[92:93]
	v_fma_f64 v[92:93], v[56:57], s[18:19], v[92:93]
	v_add_f64 v[96:97], v[96:97], v[114:115]
	v_fma_f64 v[114:115], v[58:59], s[18:19], v[98:99]
	v_add_f64 v[92:93], v[92:93], v[112:113]
	v_fma_f64 v[98:99], v[58:59], s[18:19], -v[98:99]
	v_mul_f64 v[112:113], v[44:45], s[40:41]
	v_add_f64 v[114:115], v[114:115], v[118:119]
	v_mul_f64 v[118:119], v[70:71], s[40:41]
	v_add_f64 v[98:99], v[98:99], v[116:117]
	v_fma_f64 v[116:117], v[56:57], s[36:37], -v[112:113]
	;; [unrolled: 10-line block ×4, first 2 shown]
	v_fma_f64 v[140:141], v[56:57], s[12:13], v[140:141]
	v_add_f64 v[150:151], v[150:151], v[200:201]
	v_fma_f64 v[200:201], v[58:59], s[12:13], v[172:173]
	v_add_f64 v[140:141], v[140:141], v[174:175]
	v_fma_f64 v[172:173], v[58:59], s[12:13], -v[172:173]
	v_mul_f64 v[174:175], v[44:45], s[24:25]
	v_mul_f64 v[44:45], v[44:45], s[46:47]
	v_add_f64 v[200:201], v[200:201], v[210:211]
	v_mul_f64 v[210:211], v[70:71], s[24:25]
	v_add_f64 v[172:173], v[172:173], v[202:203]
	v_fma_f64 v[202:203], v[56:57], s[16:17], -v[174:175]
	v_fma_f64 v[174:175], v[56:57], s[16:17], v[174:175]
	v_mul_f64 v[70:71], v[70:71], s[46:47]
	v_add_f64 v[202:203], v[202:203], v[222:223]
	v_add_f64 v[174:175], v[174:175], v[220:221]
	v_fma_f64 v[220:221], v[56:57], s[26:27], -v[44:45]
	v_fma_f64 v[44:45], v[56:57], s[26:27], v[44:45]
	v_add_f64 v[56:57], v[106:107], v[80:81]
	v_fma_f64 v[222:223], v[58:59], s[16:17], v[210:211]
	v_fma_f64 v[210:211], v[58:59], s[16:17], -v[210:211]
	v_add_f64 v[220:221], v[220:221], v[248:249]
	v_add_f64 v[44:45], v[44:45], v[48:49]
	v_fma_f64 v[48:49], v[58:59], s[26:27], -v[70:71]
	v_add_f64 v[222:223], v[222:223], v[246:247]
	v_add_f64 v[210:211], v[210:211], v[244:245]
	v_fma_f64 v[244:245], v[58:59], s[26:27], v[70:71]
	v_add_f64 v[48:49], v[48:49], v[50:51]
	v_add_f64 v[50:51], v[86:87], v[74:75]
	buffer_store_dword v86, off, s[60:63], 0 offset:1776 ; 4-byte Folded Spill
	buffer_store_dword v87, off, s[60:63], 0 offset:1780 ; 4-byte Folded Spill
	buffer_store_dword v74, off, s[60:63], 0 offset:1808 ; 4-byte Folded Spill
	buffer_store_dword v75, off, s[60:63], 0 offset:1812 ; 4-byte Folded Spill
	buffer_store_dword v80, off, s[60:63], 0 offset:2080 ; 4-byte Folded Spill
	buffer_store_dword v81, off, s[60:63], 0 offset:2084 ; 4-byte Folded Spill
	v_add_f64 v[244:245], v[244:245], v[250:251]
	s_clause 0x3
	buffer_load_dword v36, off, s[60:63], 0 offset:1632
	buffer_load_dword v37, off, s[60:63], 0 offset:1636
	;; [unrolled: 1-line block ×4, first 2 shown]
	v_add_f64 v[58:59], v[86:87], -v[74:75]
	v_mov_b32_e32 v86, v106
	v_mov_b32_e32 v87, v107
	s_waitcnt vmcnt(2)
	v_mov_b32_e32 v91, v37
	s_waitcnt vmcnt(0)
	v_mov_b32_e32 v147, v39
	v_mov_b32_e32 v90, v36
	;; [unrolled: 1-line block ×3, first 2 shown]
	v_add_f64 v[70:71], v[86:87], -v[80:81]
	v_mov_b32_e32 v107, v83
	v_mov_b32_e32 v106, v82
	v_add_f64 v[80:81], v[130:131], -v[134:135]
	v_mul_f64 v[246:247], v[70:71], s[50:51]
	v_fma_f64 v[248:249], v[50:51], s[16:17], -v[246:247]
	v_fma_f64 v[246:247], v[50:51], s[16:17], v[246:247]
	v_add_f64 v[52:53], v[248:249], v[52:53]
	v_mul_f64 v[248:249], v[58:59], s[50:51]
	v_add_f64 v[46:47], v[246:247], v[46:47]
	v_fma_f64 v[246:247], v[56:57], s[16:17], -v[248:249]
	v_fma_f64 v[250:251], v[56:57], s[16:17], v[248:249]
	v_add_f64 v[60:61], v[246:247], v[60:61]
	v_mul_f64 v[246:247], v[70:71], s[22:23]
	v_add_f64 v[54:55], v[250:251], v[54:55]
	;; [unrolled: 5-line block ×11, first 2 shown]
	v_fma_f64 v[246:247], v[56:57], s[26:27], -v[248:249]
	v_fma_f64 v[250:251], v[56:57], s[26:27], v[248:249]
	v_add_f64 v[172:173], v[246:247], v[172:173]
	v_mul_f64 v[246:247], v[70:71], s[44:45]
	v_mul_f64 v[70:71], v[70:71], s[30:31]
	v_add_f64 v[200:201], v[250:251], v[200:201]
	v_fma_f64 v[248:249], v[50:51], s[6:7], -v[246:247]
	v_fma_f64 v[246:247], v[50:51], s[6:7], v[246:247]
	v_add_f64 v[202:203], v[248:249], v[202:203]
	v_mul_f64 v[248:249], v[58:59], s[44:45]
	v_add_f64 v[174:175], v[246:247], v[174:175]
	v_mul_f64 v[58:59], v[58:59], s[30:31]
	v_fma_f64 v[246:247], v[56:57], s[6:7], -v[248:249]
	v_fma_f64 v[250:251], v[56:57], s[6:7], v[248:249]
	v_add_f64 v[210:211], v[246:247], v[210:211]
	v_fma_f64 v[246:247], v[50:51], s[28:29], -v[70:71]
	v_fma_f64 v[50:51], v[50:51], s[28:29], v[70:71]
	v_add_f64 v[70:71], v[36:37], -v[38:39]
	v_add_f64 v[222:223], v[250:251], v[222:223]
	v_add_f64 v[220:221], v[246:247], v[220:221]
	;; [unrolled: 1-line block ×3, first 2 shown]
	v_fma_f64 v[50:51], v[56:57], s[28:29], -v[58:59]
	v_fma_f64 v[246:247], v[56:57], s[28:29], v[58:59]
	v_add_f64 v[56:57], v[36:37], v[38:39]
	v_add_f64 v[48:49], v[50:51], v[48:49]
	;; [unrolled: 1-line block ×3, first 2 shown]
	buffer_store_dword v30, off, s[60:63], 0 offset:1792 ; 4-byte Folded Spill
	buffer_store_dword v31, off, s[60:63], 0 offset:1796 ; 4-byte Folded Spill
	v_add_f64 v[244:245], v[246:247], v[244:245]
	v_mul_f64 v[246:247], v[70:71], s[44:45]
	s_clause 0x1
	buffer_load_dword v38, off, s[60:63], 0 offset:1536
	buffer_load_dword v39, off, s[60:63], 0 offset:1540
	v_fma_f64 v[248:249], v[50:51], s[6:7], -v[246:247]
	v_fma_f64 v[246:247], v[50:51], s[6:7], v[246:247]
	v_add_f64 v[52:53], v[248:249], v[52:53]
	v_add_f64 v[46:47], v[246:247], v[46:47]
	v_add_f64 v[58:59], v[82:83], -v[30:31]
	s_clause 0x3
	buffer_load_dword v30, off, s[60:63], 0 offset:1552
	buffer_load_dword v31, off, s[60:63], 0 offset:1556
	;; [unrolled: 1-line block ×4, first 2 shown]
	s_waitcnt vmcnt(4)
	v_mov_b32_e32 v89, v39
	v_mov_b32_e32 v88, v38
	v_mul_f64 v[248:249], v[58:59], s[44:45]
	v_fma_f64 v[246:247], v[56:57], s[6:7], -v[248:249]
	v_fma_f64 v[250:251], v[56:57], s[6:7], v[248:249]
	v_add_f64 v[60:61], v[246:247], v[60:61]
	v_mul_f64 v[246:247], v[70:71], s[40:41]
	v_add_f64 v[54:55], v[250:251], v[54:55]
	v_fma_f64 v[248:249], v[50:51], s[36:37], -v[246:247]
	v_fma_f64 v[246:247], v[50:51], s[36:37], v[246:247]
	v_add_f64 v[76:77], v[248:249], v[76:77]
	v_mul_f64 v[248:249], v[58:59], s[40:41]
	v_add_f64 v[68:69], v[246:247], v[68:69]
	;; [unrolled: 5-line block ×6, first 2 shown]
	v_fma_f64 v[246:247], v[56:57], s[26:27], -v[248:249]
	v_fma_f64 v[250:251], v[56:57], s[26:27], v[248:249]
	s_waitcnt vmcnt(2)
	v_mov_b32_e32 v109, v31
	v_mov_b32_e32 v108, v30
	s_waitcnt vmcnt(0)
	v_mov_b32_e32 v43, v37
	v_mov_b32_e32 v42, v36
	v_add_f64 v[118:119], v[246:247], v[118:119]
	v_mul_f64 v[246:247], v[70:71], s[50:51]
	v_add_f64 v[122:123], v[250:251], v[122:123]
	v_fma_f64 v[248:249], v[50:51], s[16:17], -v[246:247]
	v_fma_f64 v[246:247], v[50:51], s[16:17], v[246:247]
	v_add_f64 v[124:125], v[248:249], v[124:125]
	v_mul_f64 v[248:249], v[58:59], s[50:51]
	v_add_f64 v[120:121], v[246:247], v[120:121]
	v_fma_f64 v[246:247], v[56:57], s[16:17], -v[248:249]
	v_fma_f64 v[250:251], v[56:57], s[16:17], v[248:249]
	v_add_f64 v[126:127], v[246:247], v[126:127]
	v_mul_f64 v[246:247], v[70:71], s[30:31]
	v_add_f64 v[148:149], v[250:251], v[148:149]
	v_fma_f64 v[248:249], v[50:51], s[28:29], -v[246:247]
	v_fma_f64 v[246:247], v[50:51], s[28:29], v[246:247]
	v_add_f64 v[150:151], v[248:249], v[150:151]
	v_mul_f64 v[248:249], v[58:59], s[30:31]
	v_add_f64 v[140:141], v[246:247], v[140:141]
	v_fma_f64 v[246:247], v[56:57], s[28:29], -v[248:249]
	v_fma_f64 v[250:251], v[56:57], s[28:29], v[248:249]
	v_add_f64 v[172:173], v[246:247], v[172:173]
	v_mul_f64 v[246:247], v[70:71], s[56:57]
	v_mul_f64 v[70:71], v[70:71], s[42:43]
	v_add_f64 v[200:201], v[250:251], v[200:201]
	v_fma_f64 v[248:249], v[50:51], s[18:19], -v[246:247]
	v_fma_f64 v[246:247], v[50:51], s[18:19], v[246:247]
	v_add_f64 v[202:203], v[248:249], v[202:203]
	v_mul_f64 v[248:249], v[58:59], s[56:57]
	v_add_f64 v[174:175], v[246:247], v[174:175]
	v_mul_f64 v[58:59], v[58:59], s[42:43]
	v_fma_f64 v[246:247], v[56:57], s[18:19], -v[248:249]
	v_fma_f64 v[250:251], v[56:57], s[18:19], v[248:249]
	v_add_f64 v[210:211], v[246:247], v[210:211]
	v_fma_f64 v[246:247], v[50:51], s[20:21], -v[70:71]
	v_fma_f64 v[50:51], v[50:51], s[20:21], v[70:71]
	v_add_f64 v[70:71], v[30:31], -v[36:37]
	v_add_f64 v[222:223], v[250:251], v[222:223]
	v_add_f64 v[220:221], v[246:247], v[220:221]
	v_fma_f64 v[246:247], v[56:57], s[20:21], v[58:59]
	v_add_f64 v[44:45], v[50:51], v[44:45]
	v_fma_f64 v[50:51], v[56:57], s[20:21], -v[58:59]
	v_add_f64 v[58:59], v[38:39], -v[28:29]
	v_add_f64 v[56:57], v[30:31], v[36:37]
	v_add_f64 v[244:245], v[246:247], v[244:245]
	v_mul_f64 v[246:247], v[70:71], s[14:15]
	v_add_f64 v[48:49], v[50:51], v[48:49]
	v_add_f64 v[50:51], v[38:39], v[28:29]
	s_clause 0x3
	buffer_load_dword v28, off, s[60:63], 0 offset:1504
	buffer_load_dword v29, off, s[60:63], 0 offset:1508
	;; [unrolled: 1-line block ×4, first 2 shown]
	v_add_f64 v[38:39], v[130:131], v[134:135]
	v_fma_f64 v[248:249], v[50:51], s[12:13], -v[246:247]
	v_fma_f64 v[246:247], v[50:51], s[12:13], v[246:247]
	v_add_f64 v[52:53], v[248:249], v[52:53]
	v_mul_f64 v[248:249], v[58:59], s[14:15]
	v_add_f64 v[46:47], v[246:247], v[46:47]
	v_fma_f64 v[246:247], v[56:57], s[12:13], -v[248:249]
	v_fma_f64 v[250:251], v[56:57], s[12:13], v[248:249]
	v_add_f64 v[60:61], v[246:247], v[60:61]
	v_mul_f64 v[246:247], v[70:71], s[54:55]
	;; [unrolled: 5-line block ×7, first 2 shown]
	v_add_f64 v[112:113], v[246:247], v[112:113]
	s_waitcnt vmcnt(2)
	v_mov_b32_e32 v111, v29
	v_mov_b32_e32 v110, v28
	s_waitcnt vmcnt(0)
	v_mov_b32_e32 v139, v31
	v_mov_b32_e32 v138, v30
	v_fma_f64 v[246:247], v[56:57], s[16:17], -v[248:249]
	v_fma_f64 v[250:251], v[56:57], s[16:17], v[248:249]
	v_add_f64 v[118:119], v[246:247], v[118:119]
	v_mul_f64 v[246:247], v[70:71], s[40:41]
	v_add_f64 v[122:123], v[250:251], v[122:123]
	v_fma_f64 v[248:249], v[50:51], s[36:37], -v[246:247]
	v_fma_f64 v[246:247], v[50:51], s[36:37], v[246:247]
	v_add_f64 v[124:125], v[248:249], v[124:125]
	v_mul_f64 v[248:249], v[58:59], s[40:41]
	v_add_f64 v[120:121], v[246:247], v[120:121]
	;; [unrolled: 5-line block ×4, first 2 shown]
	v_fma_f64 v[246:247], v[56:57], s[6:7], -v[248:249]
	v_fma_f64 v[250:251], v[56:57], s[6:7], v[248:249]
	v_add_f64 v[172:173], v[246:247], v[172:173]
	v_mul_f64 v[246:247], v[70:71], s[38:39]
	v_mul_f64 v[70:71], v[70:71], s[22:23]
	v_add_f64 v[200:201], v[250:251], v[200:201]
	v_fma_f64 v[248:249], v[50:51], s[26:27], -v[246:247]
	v_fma_f64 v[246:247], v[50:51], s[26:27], v[246:247]
	v_add_f64 v[202:203], v[248:249], v[202:203]
	v_mul_f64 v[248:249], v[58:59], s[38:39]
	v_add_f64 v[174:175], v[246:247], v[174:175]
	v_mul_f64 v[58:59], v[58:59], s[22:23]
	v_fma_f64 v[246:247], v[56:57], s[26:27], -v[248:249]
	v_fma_f64 v[250:251], v[56:57], s[26:27], v[248:249]
	v_add_f64 v[210:211], v[246:247], v[210:211]
	v_fma_f64 v[246:247], v[50:51], s[18:19], -v[70:71]
	v_fma_f64 v[50:51], v[50:51], s[18:19], v[70:71]
	v_add_f64 v[70:71], v[28:29], -v[30:31]
	v_add_f64 v[222:223], v[250:251], v[222:223]
	v_add_f64 v[220:221], v[246:247], v[220:221]
	v_fma_f64 v[246:247], v[56:57], s[18:19], v[58:59]
	v_add_f64 v[44:45], v[50:51], v[44:45]
	v_fma_f64 v[50:51], v[56:57], s[18:19], -v[58:59]
	v_add_f64 v[58:59], v[24:25], -v[26:27]
	v_add_f64 v[56:57], v[28:29], v[30:31]
	v_add_f64 v[244:245], v[246:247], v[244:245]
	v_mul_f64 v[246:247], v[70:71], s[22:23]
	v_add_f64 v[48:49], v[50:51], v[48:49]
	v_add_f64 v[50:51], v[24:25], v[26:27]
	v_fma_f64 v[248:249], v[50:51], s[18:19], -v[246:247]
	v_fma_f64 v[246:247], v[50:51], s[18:19], v[246:247]
	v_add_f64 v[52:53], v[248:249], v[52:53]
	v_mul_f64 v[248:249], v[58:59], s[22:23]
	v_add_f64 v[46:47], v[246:247], v[46:47]
	v_fma_f64 v[246:247], v[56:57], s[18:19], -v[248:249]
	v_fma_f64 v[250:251], v[56:57], s[18:19], v[248:249]
	v_add_f64 v[60:61], v[246:247], v[60:61]
	v_mul_f64 v[246:247], v[70:71], s[52:53]
	;; [unrolled: 5-line block ×10, first 2 shown]
	v_add_f64 v[148:149], v[250:251], v[148:149]
	v_fma_f64 v[248:249], v[50:51], s[20:21], -v[246:247]
	v_add_f64 v[150:151], v[248:249], v[150:151]
	v_mul_f64 v[248:249], v[58:59], s[48:49]
	v_fma_f64 v[250:251], v[56:57], s[20:21], v[248:249]
	v_add_f64 v[66:67], v[250:251], v[200:201]
	v_fma_f64 v[200:201], v[50:51], s[20:21], v[246:247]
	v_add_f64 v[140:141], v[200:201], v[140:141]
	v_fma_f64 v[200:201], v[56:57], s[20:21], -v[248:249]
	v_add_f64 v[72:73], v[200:201], v[172:173]
	v_mul_f64 v[172:173], v[70:71], s[40:41]
	v_mul_f64 v[70:71], v[70:71], s[24:25]
	v_fma_f64 v[200:201], v[50:51], s[36:37], -v[172:173]
	v_fma_f64 v[172:173], v[50:51], s[36:37], v[172:173]
	v_add_f64 v[24:25], v[200:201], v[202:203]
	v_mul_f64 v[200:201], v[58:59], s[40:41]
	v_add_f64 v[28:29], v[172:173], v[174:175]
	v_mul_f64 v[58:59], v[58:59], s[24:25]
	v_fma_f64 v[172:173], v[56:57], s[36:37], -v[200:201]
	v_fma_f64 v[202:203], v[56:57], s[36:37], v[200:201]
	v_add_f64 v[210:211], v[172:173], v[210:211]
	v_fma_f64 v[172:173], v[50:51], s[16:17], -v[70:71]
	v_fma_f64 v[50:51], v[50:51], s[16:17], v[70:71]
	v_add_f64 v[26:27], v[202:203], v[222:223]
	v_add_f64 v[30:31], v[172:173], v[220:221]
	;; [unrolled: 1-line block ×3, first 2 shown]
	v_fma_f64 v[50:51], v[56:57], s[16:17], -v[58:59]
	v_fma_f64 v[172:173], v[56:57], s[16:17], v[58:59]
	v_add_f64 v[70:71], v[50:51], v[48:49]
	s_clause 0x3
	buffer_load_dword v48, off, s[60:63], 0 offset:1472
	buffer_load_dword v49, off, s[60:63], 0 offset:1476
	;; [unrolled: 1-line block ×4, first 2 shown]
	v_add_f64 v[36:37], v[172:173], v[244:245]
	s_waitcnt vmcnt(2)
	v_mov_b32_e32 v131, v49
	v_mov_b32_e32 v130, v48
	s_waitcnt vmcnt(0)
	v_add_f64 v[82:83], v[48:49], -v[50:51]
	v_add_f64 v[74:75], v[48:49], v[50:51]
	v_mov_b32_e32 v135, v51
	v_mov_b32_e32 v134, v50
	v_mul_f64 v[48:49], v[82:83], s[30:31]
	v_fma_f64 v[50:51], v[38:39], s[28:29], -v[48:49]
	v_fma_f64 v[48:49], v[38:39], s[28:29], v[48:49]
	v_add_f64 v[52:53], v[50:51], v[52:53]
	v_mul_f64 v[50:51], v[80:81], s[30:31]
	v_add_f64 v[46:47], v[48:49], v[46:47]
	v_fma_f64 v[48:49], v[74:75], s[28:29], -v[50:51]
	v_fma_f64 v[56:57], v[74:75], s[28:29], v[50:51]
	v_add_f64 v[84:85], v[48:49], v[60:61]
	v_mul_f64 v[48:49], v[82:83], s[24:25]
	v_add_f64 v[54:55], v[56:57], v[54:55]
	v_fma_f64 v[50:51], v[38:39], s[16:17], -v[48:49]
	v_fma_f64 v[48:49], v[38:39], s[16:17], v[48:49]
	v_add_f64 v[58:59], v[50:51], v[76:77]
	v_mul_f64 v[50:51], v[80:81], s[24:25]
	v_mul_f64 v[76:77], v[82:83], s[44:45]
	v_fma_f64 v[56:57], v[74:75], s[16:17], v[50:51]
	v_add_f64 v[60:61], v[56:57], v[94:95]
	v_add_f64 v[56:57], v[48:49], v[68:69]
	v_fma_f64 v[48:49], v[74:75], s[16:17], -v[50:51]
	v_add_f64 v[50:51], v[48:49], v[78:79]
	v_fma_f64 v[48:49], v[38:39], s[6:7], -v[76:77]
	v_mul_f64 v[78:79], v[80:81], s[44:45]
	v_fma_f64 v[76:77], v[38:39], s[6:7], v[76:77]
	v_add_f64 v[68:69], v[48:49], v[96:97]
	v_fma_f64 v[48:49], v[74:75], s[6:7], v[78:79]
	v_add_f64 v[250:251], v[76:77], v[92:93]
	v_fma_f64 v[76:77], v[74:75], s[6:7], -v[78:79]
	v_add_f64 v[48:49], v[48:49], v[114:115]
	v_add_f64 v[248:249], v[76:77], v[98:99]
	v_mul_f64 v[76:77], v[82:83], s[56:57]
	v_fma_f64 v[78:79], v[38:39], s[18:19], -v[76:77]
	v_fma_f64 v[76:77], v[38:39], s[18:19], v[76:77]
	v_add_f64 v[244:245], v[78:79], v[116:117]
	v_mul_f64 v[78:79], v[80:81], s[56:57]
	v_add_f64 v[222:223], v[76:77], v[112:113]
	v_fma_f64 v[76:77], v[74:75], s[18:19], -v[78:79]
	v_fma_f64 v[92:93], v[74:75], s[18:19], v[78:79]
	v_add_f64 v[220:221], v[76:77], v[118:119]
	v_mul_f64 v[76:77], v[82:83], s[38:39]
	v_add_f64 v[246:247], v[92:93], v[122:123]
	;; [unrolled: 5-line block ×4, first 2 shown]
	v_fma_f64 v[78:79], v[38:39], s[36:37], -v[76:77]
	v_add_f64 v[148:149], v[78:79], v[150:151]
	v_mul_f64 v[78:79], v[80:81], s[40:41]
	v_fma_f64 v[92:93], v[74:75], s[36:37], v[78:79]
	v_add_f64 v[150:151], v[92:93], v[66:67]
	v_fma_f64 v[66:67], v[38:39], s[36:37], v[76:77]
	v_add_f64 v[126:127], v[66:67], v[140:141]
	v_fma_f64 v[66:67], v[74:75], s[36:37], -v[78:79]
	v_add_f64 v[124:125], v[66:67], v[72:73]
	v_mul_f64 v[66:67], v[82:83], s[42:43]
	v_fma_f64 v[72:73], v[38:39], s[20:21], -v[66:67]
	v_add_f64 v[118:119], v[72:73], v[24:25]
	v_mul_f64 v[24:25], v[80:81], s[42:43]
	v_fma_f64 v[72:73], v[74:75], s[20:21], v[24:25]
	v_fma_f64 v[24:25], v[74:75], s[20:21], -v[24:25]
	v_add_f64 v[120:121], v[72:73], v[26:27]
	v_fma_f64 v[26:27], v[38:39], s[20:21], v[66:67]
	v_add_f64 v[114:115], v[24:25], v[210:211]
	v_mul_f64 v[24:25], v[82:83], s[14:15]
	s_clause 0x3
	buffer_load_dword v72, off, s[60:63], 0 offset:1456
	buffer_load_dword v73, off, s[60:63], 0 offset:1460
	;; [unrolled: 1-line block ×4, first 2 shown]
	v_add_f64 v[116:117], v[26:27], v[28:29]
	v_fma_f64 v[26:27], v[38:39], s[12:13], -v[24:25]
	v_fma_f64 v[24:25], v[38:39], s[12:13], v[24:25]
	v_add_f64 v[98:99], v[26:27], v[30:31]
	v_mul_f64 v[26:27], v[80:81], s[14:15]
	v_add_f64 v[78:79], v[24:25], v[44:45]
	s_clause 0x1
	buffer_load_dword v44, off, s[60:63], 0 offset:1392
	buffer_load_dword v45, off, s[60:63], 0 offset:1396
	v_fma_f64 v[24:25], v[74:75], s[12:13], -v[26:27]
	v_fma_f64 v[28:29], v[74:75], s[12:13], v[26:27]
	v_add_f64 v[76:77], v[24:25], v[70:71]
	s_clause 0x1
	buffer_load_dword v70, off, s[60:63], 0 offset:1440
	buffer_load_dword v71, off, s[60:63], 0 offset:1444
	v_add_f64 v[96:97], v[28:29], v[36:37]
	s_waitcnt vmcnt(4)
	v_add_f64 v[122:123], v[66:67], -v[72:73]
	v_add_f64 v[92:93], v[66:67], v[72:73]
	v_mul_f64 v[24:25], v[122:123], s[40:41]
	s_waitcnt vmcnt(0)
	v_add_f64 v[94:95], v[44:45], v[70:71]
	v_add_f64 v[112:113], v[44:45], -v[70:71]
	v_fma_f64 v[26:27], v[94:95], s[36:37], -v[24:25]
	v_fma_f64 v[24:25], v[94:95], s[36:37], v[24:25]
	v_add_f64 v[36:37], v[26:27], v[52:53]
	v_mul_f64 v[26:27], v[112:113], s[40:41]
	v_fma_f64 v[28:29], v[92:93], s[36:37], v[26:27]
	v_add_f64 v[38:39], v[28:29], v[54:55]
	v_add_f64 v[28:29], v[24:25], v[46:47]
	v_fma_f64 v[24:25], v[92:93], s[36:37], -v[26:27]
	buffer_store_dword v36, off, s[60:63], 0 offset:4 ; 4-byte Folded Spill
	buffer_store_dword v37, off, s[60:63], 0 offset:8 ; 4-byte Folded Spill
	buffer_store_dword v38, off, s[60:63], 0 offset:12 ; 4-byte Folded Spill
	buffer_store_dword v39, off, s[60:63], 0 offset:16 ; 4-byte Folded Spill
	v_add_f64 v[30:31], v[24:25], v[84:85]
	v_mul_f64 v[24:25], v[122:123], s[46:47]
	buffer_store_dword v28, off, s[60:63], 0 offset:36 ; 4-byte Folded Spill
	buffer_store_dword v29, off, s[60:63], 0 offset:40 ; 4-byte Folded Spill
	buffer_store_dword v30, off, s[60:63], 0 offset:44 ; 4-byte Folded Spill
	buffer_store_dword v31, off, s[60:63], 0 offset:48 ; 4-byte Folded Spill
	v_fma_f64 v[26:27], v[94:95], s[26:27], -v[24:25]
	v_fma_f64 v[24:25], v[94:95], s[26:27], v[24:25]
	v_add_f64 v[36:37], v[26:27], v[58:59]
	v_mul_f64 v[26:27], v[112:113], s[46:47]
	v_fma_f64 v[28:29], v[92:93], s[26:27], v[26:27]
	v_add_f64 v[38:39], v[28:29], v[60:61]
	v_add_f64 v[28:29], v[24:25], v[56:57]
	v_fma_f64 v[24:25], v[92:93], s[26:27], -v[26:27]
	buffer_store_dword v36, off, s[60:63], 0 offset:20 ; 4-byte Folded Spill
	buffer_store_dword v37, off, s[60:63], 0 offset:24 ; 4-byte Folded Spill
	buffer_store_dword v38, off, s[60:63], 0 offset:28 ; 4-byte Folded Spill
	buffer_store_dword v39, off, s[60:63], 0 offset:32 ; 4-byte Folded Spill
	v_add_f64 v[30:31], v[24:25], v[50:51]
	v_mul_f64 v[24:25], v[122:123], s[30:31]
	buffer_store_dword v28, off, s[60:63], 0 offset:68 ; 4-byte Folded Spill
	buffer_store_dword v29, off, s[60:63], 0 offset:72 ; 4-byte Folded Spill
	buffer_store_dword v30, off, s[60:63], 0 offset:76 ; 4-byte Folded Spill
	buffer_store_dword v31, off, s[60:63], 0 offset:80 ; 4-byte Folded Spill
	;; [unrolled: 18-line block ×7, first 2 shown]
	v_fma_f64 v[26:27], v[94:95], s[6:7], -v[24:25]
	v_fma_f64 v[24:25], v[94:95], s[6:7], v[24:25]
	v_add_f64 v[36:37], v[26:27], v[98:99]
	v_mul_f64 v[26:27], v[112:113], s[34:35]
	v_fma_f64 v[28:29], v[92:93], s[6:7], v[26:27]
	v_add_f64 v[38:39], v[28:29], v[96:97]
	v_add_f64 v[28:29], v[24:25], v[78:79]
	v_fma_f64 v[24:25], v[92:93], s[6:7], -v[26:27]
	buffer_store_dword v36, off, s[60:63], 0 offset:228 ; 4-byte Folded Spill
	buffer_store_dword v37, off, s[60:63], 0 offset:232 ; 4-byte Folded Spill
	;; [unrolled: 1-line block ×4, first 2 shown]
	v_add_f64 v[30:31], v[24:25], v[76:77]
	v_mov_b32_e32 v24, 0x77
	buffer_store_dword v28, off, s[60:63], 0 offset:244 ; 4-byte Folded Spill
	buffer_store_dword v29, off, s[60:63], 0 offset:248 ; 4-byte Folded Spill
	;; [unrolled: 1-line block ×4, first 2 shown]
	v_mul_u32_u24_sdwa v25, v206, v24 dst_sel:DWORD dst_unused:UNUSED_PAD src0_sel:WORD_0 src1_sel:DWORD
	s_waitcnt_vscnt null, 0x0
	s_barrier
	buffer_gl0_inv
	v_add_nc_u32_sdwa v25, v25, v207 dst_sel:DWORD dst_unused:UNUSED_PAD src0_sel:DWORD src1_sel:BYTE_0
	v_lshl_add_u32 v206, v25, 4, v205
	s_clause 0x3
	buffer_load_dword v25, off, s[60:63], 0 offset:1376
	buffer_load_dword v26, off, s[60:63], 0 offset:1380
	;; [unrolled: 1-line block ×4, first 2 shown]
	s_waitcnt vmcnt(0)
	ds_write_b128 v206, v[25:28]
	s_clause 0x3
	buffer_load_dword v25, off, s[60:63], 0 offset:1568
	buffer_load_dword v26, off, s[60:63], 0 offset:1572
	buffer_load_dword v27, off, s[60:63], 0 offset:1576
	buffer_load_dword v28, off, s[60:63], 0 offset:1580
	s_waitcnt vmcnt(0)
	ds_write_b128 v206, v[25:28] offset:112
	s_clause 0x3
	buffer_load_dword v25, off, s[60:63], 0 offset:1616
	buffer_load_dword v26, off, s[60:63], 0 offset:1620
	buffer_load_dword v27, off, s[60:63], 0 offset:1624
	buffer_load_dword v28, off, s[60:63], 0 offset:1628
	s_waitcnt vmcnt(0)
	ds_write_b128 v206, v[25:28] offset:224
	;; [unrolled: 7-line block ×3, first 2 shown]
	ds_write_b128 v206, v[152:155] offset:448
	ds_write_b128 v206, v[160:163] offset:560
	;; [unrolled: 1-line block ×10, first 2 shown]
	s_clause 0x3
	buffer_load_dword v25, off, s[60:63], 0 offset:1696
	buffer_load_dword v26, off, s[60:63], 0 offset:1700
	buffer_load_dword v27, off, s[60:63], 0 offset:1704
	buffer_load_dword v28, off, s[60:63], 0 offset:1708
	s_waitcnt vmcnt(0)
	ds_write_b128 v206, v[25:28] offset:1568
	s_clause 0x3
	buffer_load_dword v25, off, s[60:63], 0 offset:1648
	buffer_load_dword v26, off, s[60:63], 0 offset:1652
	buffer_load_dword v27, off, s[60:63], 0 offset:1656
	buffer_load_dword v28, off, s[60:63], 0 offset:1660
	s_waitcnt vmcnt(0)
	ds_write_b128 v206, v[25:28] offset:1680
	;; [unrolled: 7-line block ×3, first 2 shown]
	buffer_load_dword v25, off, s[60:63], 0 offset:1372 ; 4-byte Folded Reload
	s_waitcnt vmcnt(0)
	v_mul_u32_u24_sdwa v24, v25, v24 dst_sel:DWORD dst_unused:UNUSED_PAD src0_sel:WORD_0 src1_sel:DWORD
	v_add_nc_u32_sdwa v24, v24, v142 dst_sel:DWORD dst_unused:UNUSED_PAD src0_sel:DWORD src1_sel:BYTE_0
	v_lshl_add_u32 v207, v24, 4, v205
	ds_write_b128 v207, v[196:199]
	ds_write_b128 v207, v[62:65] offset:112
	ds_write_b128 v207, v[212:215] offset:224
	;; [unrolled: 1-line block ×16, first 2 shown]
	v_and_b32_e32 v0, 0xff, v143
	buffer_store_dword v0, off, s[60:63], 0 offset:1372 ; 4-byte Folded Spill
	s_and_saveexec_b32 s6, vcc_lo
	s_cbranch_execz .LBB0_5
; %bb.4:
	s_clause 0x5
	buffer_load_dword v0, off, s[60:63], 0 offset:1760
	buffer_load_dword v1, off, s[60:63], 0 offset:1764
	;; [unrolled: 1-line block ×6, first 2 shown]
	s_waitcnt vmcnt(4)
	v_add_f64 v[0:1], v[102:103], v[0:1]
	s_waitcnt vmcnt(2)
	v_add_f64 v[2:3], v[100:101], v[2:3]
	;; [unrolled: 2-line block ×3, first 2 shown]
	s_clause 0x1
	buffer_load_dword v4, off, s[60:63], 0 offset:1776
	buffer_load_dword v5, off, s[60:63], 0 offset:1780
	v_add_f64 v[2:3], v[2:3], v[104:105]
	v_add_f64 v[0:1], v[0:1], v[86:87]
	;; [unrolled: 1-line block ×12, first 2 shown]
	s_waitcnt vmcnt(0)
	v_add_f64 v[2:3], v[2:3], v[4:5]
	s_clause 0x1
	buffer_load_dword v4, off, s[60:63], 0 offset:1792
	buffer_load_dword v5, off, s[60:63], 0 offset:1796
	v_add_f64 v[2:3], v[2:3], v[106:107]
	v_add_f64 v[2:3], v[2:3], v[88:89]
	;; [unrolled: 1-line block ×9, first 2 shown]
	s_waitcnt vmcnt(0)
	v_add_f64 v[2:3], v[2:3], v[4:5]
	s_clause 0x1
	buffer_load_dword v4, off, s[60:63], 0 offset:2080
	buffer_load_dword v5, off, s[60:63], 0 offset:2084
	s_waitcnt vmcnt(0)
	v_add_f64 v[0:1], v[0:1], v[4:5]
	s_clause 0x1
	buffer_load_dword v4, off, s[60:63], 0 offset:1808
	buffer_load_dword v5, off, s[60:63], 0 offset:1812
	;; [unrolled: 5-line block ×7, first 2 shown]
	buffer_load_dword v6, off, s[60:63], 0 offset:8
	buffer_load_dword v7, off, s[60:63], 0 offset:12
	buffer_load_dword v8, off, s[60:63], 0 offset:16
	s_waitcnt vmcnt(4)
	v_lshl_add_u32 v4, v4, 4, v205
	s_waitcnt vmcnt(0)
	ds_write_b128 v4, v[5:8] offset:7728
	s_clause 0x3
	buffer_load_dword v5, off, s[60:63], 0 offset:20
	buffer_load_dword v6, off, s[60:63], 0 offset:24
	buffer_load_dword v7, off, s[60:63], 0 offset:28
	buffer_load_dword v8, off, s[60:63], 0 offset:32
	s_waitcnt vmcnt(0)
	ds_write_b128 v4, v[5:8] offset:7840
	s_clause 0x3
	buffer_load_dword v5, off, s[60:63], 0 offset:52
	buffer_load_dword v6, off, s[60:63], 0 offset:56
	buffer_load_dword v7, off, s[60:63], 0 offset:60
	buffer_load_dword v8, off, s[60:63], 0 offset:64
	;; [unrolled: 7-line block ×14, first 2 shown]
	s_waitcnt vmcnt(0)
	ds_write_b128 v4, v[5:8] offset:9296
	ds_write_b128 v4, v[0:3] offset:7616
	s_clause 0x3
	buffer_load_dword v0, off, s[60:63], 0 offset:36
	buffer_load_dword v1, off, s[60:63], 0 offset:40
	;; [unrolled: 1-line block ×4, first 2 shown]
	s_waitcnt vmcnt(0)
	ds_write_b128 v4, v[0:3] offset:9408
.LBB0_5:
	s_or_b32 exec_lo, exec_lo, s6
	buffer_load_dword v178, off, s[60:63], 0 ; 4-byte Folded Reload
	s_waitcnt vmcnt(0) lgkmcnt(0)
	s_waitcnt_vscnt null, 0x0
	s_barrier
	buffer_gl0_inv
	ds_read_b128 v[28:31], v204
	ds_read_b128 v[101:104], v204 offset:1904
	ds_read_b128 v[105:108], v204 offset:3808
	;; [unrolled: 1-line block ×34, first 2 shown]
	s_mov_b32 s14, 0x134454ff
	s_mov_b32 s15, 0x3fee6f0e
	s_mov_b32 s13, 0xbfee6f0e
	s_mov_b32 s12, s14
	s_add_u32 s6, s0, 0x2530
	s_addc_u32 s7, s1, 0
	s_mov_b32 s0, 0x4755a5e
	s_mov_b32 s1, 0x3fe2cf23
	;; [unrolled: 1-line block ×11, first 2 shown]
	v_lshlrev_b32_e32 v100, 6, v178
	s_clause 0x3
	global_load_dwordx4 v[136:139], v100, s[2:3] offset:1840
	global_load_dwordx4 v[140:143], v100, s[2:3] offset:1824
	global_load_dwordx4 v[144:147], v100, s[2:3] offset:1808
	global_load_dwordx4 v[156:159], v100, s[2:3] offset:1792
	s_waitcnt vmcnt(0) lgkmcnt(33)
	v_mul_f64 v[109:110], v[103:104], v[158:159]
	v_fma_f64 v[254:255], v[101:102], v[156:157], -v[109:110]
	v_mul_f64 v[101:102], v[101:102], v[158:159]
	buffer_store_dword v156, off, s[60:63], 0 offset:1440 ; 4-byte Folded Spill
	buffer_store_dword v157, off, s[60:63], 0 offset:1444 ; 4-byte Folded Spill
	buffer_store_dword v158, off, s[60:63], 0 offset:1448 ; 4-byte Folded Spill
	buffer_store_dword v159, off, s[60:63], 0 offset:1452 ; 4-byte Folded Spill
	v_fma_f64 v[164:165], v[103:104], v[156:157], v[101:102]
	s_waitcnt lgkmcnt(32)
	v_mul_f64 v[101:102], v[107:108], v[146:147]
	v_fma_f64 v[168:169], v[105:106], v[144:145], -v[101:102]
	v_mul_f64 v[101:102], v[105:106], v[146:147]
	buffer_store_dword v144, off, s[60:63], 0 offset:1408 ; 4-byte Folded Spill
	buffer_store_dword v145, off, s[60:63], 0 offset:1412 ; 4-byte Folded Spill
	buffer_store_dword v146, off, s[60:63], 0 offset:1416 ; 4-byte Folded Spill
	buffer_store_dword v147, off, s[60:63], 0 offset:1420 ; 4-byte Folded Spill
	v_fma_f64 v[166:167], v[107:108], v[144:145], v[101:102]
	s_waitcnt lgkmcnt(31)
	v_mul_f64 v[101:102], v[130:131], v[142:143]
	v_fma_f64 v[170:171], v[128:129], v[140:141], -v[101:102]
	v_mul_f64 v[101:102], v[128:129], v[142:143]
	buffer_store_dword v140, off, s[60:63], 0 offset:1392 ; 4-byte Folded Spill
	buffer_store_dword v141, off, s[60:63], 0 offset:1396 ; 4-byte Folded Spill
	buffer_store_dword v142, off, s[60:63], 0 offset:1400 ; 4-byte Folded Spill
	buffer_store_dword v143, off, s[60:63], 0 offset:1404 ; 4-byte Folded Spill
	v_fma_f64 v[160:161], v[130:131], v[140:141], v[101:102]
	s_waitcnt lgkmcnt(30)
	v_mul_f64 v[101:102], v[134:135], v[138:139]
	v_fma_f64 v[176:177], v[132:133], v[136:137], -v[101:102]
	v_mul_f64 v[101:102], v[132:133], v[138:139]
	buffer_store_dword v136, off, s[60:63], 0 offset:1376 ; 4-byte Folded Spill
	buffer_store_dword v137, off, s[60:63], 0 offset:1380 ; 4-byte Folded Spill
	buffer_store_dword v138, off, s[60:63], 0 offset:1384 ; 4-byte Folded Spill
	buffer_store_dword v139, off, s[60:63], 0 offset:1388 ; 4-byte Folded Spill
	v_fma_f64 v[162:163], v[134:135], v[136:137], v[101:102]
	v_lshlrev_b32_e32 v101, 6, v208
	s_clause 0x3
	global_load_dwordx4 v[103:106], v101, s[2:3] offset:1840
	global_load_dwordx4 v[107:110], v101, s[2:3] offset:1824
	global_load_dwordx4 v[128:131], v101, s[2:3] offset:1808
	global_load_dwordx4 v[132:135], v101, s[2:3] offset:1792
	s_waitcnt vmcnt(0) lgkmcnt(28)
	v_mul_f64 v[101:102], v[154:155], v[134:135]
	v_fma_f64 v[156:157], v[152:153], v[132:133], -v[101:102]
	v_mul_f64 v[101:102], v[152:153], v[134:135]
	buffer_store_dword v132, off, s[60:63], 0 offset:1504 ; 4-byte Folded Spill
	buffer_store_dword v133, off, s[60:63], 0 offset:1508 ; 4-byte Folded Spill
	buffer_store_dword v134, off, s[60:63], 0 offset:1512 ; 4-byte Folded Spill
	buffer_store_dword v135, off, s[60:63], 0 offset:1516 ; 4-byte Folded Spill
	v_fma_f64 v[144:145], v[154:155], v[132:133], v[101:102]
	s_waitcnt lgkmcnt(27)
	v_mul_f64 v[101:102], v[150:151], v[130:131]
	v_fma_f64 v[158:159], v[148:149], v[128:129], -v[101:102]
	v_mul_f64 v[101:102], v[148:149], v[130:131]
	buffer_store_dword v128, off, s[60:63], 0 offset:1488 ; 4-byte Folded Spill
	buffer_store_dword v129, off, s[60:63], 0 offset:1492 ; 4-byte Folded Spill
	buffer_store_dword v130, off, s[60:63], 0 offset:1496 ; 4-byte Folded Spill
	buffer_store_dword v131, off, s[60:63], 0 offset:1500 ; 4-byte Folded Spill
	v_fma_f64 v[146:147], v[150:151], v[128:129], v[101:102]
	s_waitcnt lgkmcnt(26)
	v_mul_f64 v[101:102], v[126:127], v[109:110]
	v_fma_f64 v[152:153], v[124:125], v[107:108], -v[101:102]
	v_mul_f64 v[101:102], v[124:125], v[109:110]
	buffer_store_dword v107, off, s[60:63], 0 offset:1472 ; 4-byte Folded Spill
	buffer_store_dword v108, off, s[60:63], 0 offset:1476 ; 4-byte Folded Spill
	buffer_store_dword v109, off, s[60:63], 0 offset:1480 ; 4-byte Folded Spill
	buffer_store_dword v110, off, s[60:63], 0 offset:1484 ; 4-byte Folded Spill
	v_fma_f64 v[138:139], v[126:127], v[107:108], v[101:102]
	s_waitcnt lgkmcnt(25)
	v_mul_f64 v[101:102], v[122:123], v[105:106]
	v_fma_f64 v[154:155], v[120:121], v[103:104], -v[101:102]
	v_mul_f64 v[101:102], v[120:121], v[105:106]
	buffer_store_dword v103, off, s[60:63], 0 offset:1456 ; 4-byte Folded Spill
	buffer_store_dword v104, off, s[60:63], 0 offset:1460 ; 4-byte Folded Spill
	buffer_store_dword v105, off, s[60:63], 0 offset:1464 ; 4-byte Folded Spill
	buffer_store_dword v106, off, s[60:63], 0 offset:1468 ; 4-byte Folded Spill
	v_fma_f64 v[142:143], v[122:123], v[103:104], v[101:102]
	;; [unrolled: 42-line block ×3, first 2 shown]
	buffer_load_dword v92, off, s[60:63], 0 offset:1424 ; 4-byte Folded Reload
	s_waitcnt vmcnt(0)
	v_lshlrev_b32_e32 v92, 6, v92
	s_clause 0x3
	global_load_dwordx4 v[101:104], v92, s[2:3] offset:1840
	global_load_dwordx4 v[114:117], v92, s[2:3] offset:1824
	;; [unrolled: 1-line block ×4, first 2 shown]
	s_waitcnt vmcnt(0) lgkmcnt(18)
	v_mul_f64 v[92:93], v[90:91], v[107:108]
	v_fma_f64 v[96:97], v[88:89], v[105:106], -v[92:93]
	v_mul_f64 v[88:89], v[88:89], v[107:108]
	buffer_store_dword v105, off, s[60:63], 0 offset:1616 ; 4-byte Folded Spill
	buffer_store_dword v106, off, s[60:63], 0 offset:1620 ; 4-byte Folded Spill
	buffer_store_dword v107, off, s[60:63], 0 offset:1624 ; 4-byte Folded Spill
	buffer_store_dword v108, off, s[60:63], 0 offset:1628 ; 4-byte Folded Spill
	v_fma_f64 v[90:91], v[90:91], v[105:106], v[88:89]
	s_waitcnt lgkmcnt(17)
	v_mul_f64 v[88:89], v[86:87], v[120:121]
	v_fma_f64 v[106:107], v[84:85], v[118:119], -v[88:89]
	v_mul_f64 v[84:85], v[84:85], v[120:121]
	buffer_store_dword v118, off, s[60:63], 0 offset:1600 ; 4-byte Folded Spill
	buffer_store_dword v119, off, s[60:63], 0 offset:1604 ; 4-byte Folded Spill
	buffer_store_dword v120, off, s[60:63], 0 offset:1608 ; 4-byte Folded Spill
	buffer_store_dword v121, off, s[60:63], 0 offset:1612 ; 4-byte Folded Spill
	v_fma_f64 v[92:93], v[86:87], v[118:119], v[84:85]
	s_waitcnt lgkmcnt(16)
	;; [unrolled: 9-line block ×3, first 2 shown]
	v_mul_f64 v[80:81], v[78:79], v[103:104]
	v_fma_f64 v[82:83], v[76:77], v[101:102], -v[80:81]
	v_mul_f64 v[76:77], v[76:77], v[103:104]
	buffer_store_dword v101, off, s[60:63], 0 offset:1424 ; 4-byte Folded Spill
	buffer_store_dword v102, off, s[60:63], 0 offset:1428 ; 4-byte Folded Spill
	;; [unrolled: 1-line block ×4, first 2 shown]
	v_add_f64 v[84:85], v[82:83], -v[108:109]
	v_fma_f64 v[88:89], v[78:79], v[101:102], v[76:77]
	buffer_load_dword v76, off, s[60:63], 0 offset:1108 ; 4-byte Folded Reload
	s_waitcnt vmcnt(0)
	v_lshlrev_b32_e32 v76, 6, v76
	s_clause 0x3
	global_load_dwordx4 v[78:81], v76, s[2:3] offset:1840
	global_load_dwordx4 v[101:104], v76, s[2:3] offset:1824
	global_load_dwordx4 v[116:119], v76, s[2:3] offset:1808
	global_load_dwordx4 v[120:123], v76, s[2:3] offset:1792
	s_waitcnt vmcnt(0) lgkmcnt(13)
	v_mul_f64 v[76:77], v[74:75], v[122:123]
	v_fma_f64 v[94:95], v[72:73], v[120:121], -v[76:77]
	v_mul_f64 v[72:73], v[72:73], v[122:123]
	buffer_store_dword v120, off, s[60:63], 0 offset:1680 ; 4-byte Folded Spill
	buffer_store_dword v121, off, s[60:63], 0 offset:1684 ; 4-byte Folded Spill
	buffer_store_dword v122, off, s[60:63], 0 offset:1688 ; 4-byte Folded Spill
	buffer_store_dword v123, off, s[60:63], 0 offset:1692 ; 4-byte Folded Spill
	v_fma_f64 v[114:115], v[74:75], v[120:121], v[72:73]
	s_waitcnt lgkmcnt(12)
	v_mul_f64 v[72:73], v[70:71], v[118:119]
	v_fma_f64 v[98:99], v[68:69], v[116:117], -v[72:73]
	v_mul_f64 v[68:69], v[68:69], v[118:119]
	buffer_store_dword v116, off, s[60:63], 0 offset:1664 ; 4-byte Folded Spill
	buffer_store_dword v117, off, s[60:63], 0 offset:1668 ; 4-byte Folded Spill
	buffer_store_dword v118, off, s[60:63], 0 offset:1672 ; 4-byte Folded Spill
	buffer_store_dword v119, off, s[60:63], 0 offset:1676 ; 4-byte Folded Spill
	v_fma_f64 v[116:117], v[70:71], v[116:117], v[68:69]
	s_waitcnt lgkmcnt(11)
	;; [unrolled: 9-line block ×3, first 2 shown]
	v_mul_f64 v[64:65], v[62:63], v[80:81]
	v_fma_f64 v[148:149], v[60:61], v[78:79], -v[64:65]
	v_mul_f64 v[60:61], v[60:61], v[80:81]
	buffer_store_dword v78, off, s[60:63], 0 offset:1632 ; 4-byte Folded Spill
	buffer_store_dword v79, off, s[60:63], 0 offset:1636 ; 4-byte Folded Spill
	buffer_store_dword v80, off, s[60:63], 0 offset:1640 ; 4-byte Folded Spill
	buffer_store_dword v81, off, s[60:63], 0 offset:1644 ; 4-byte Folded Spill
	v_add_f64 v[80:81], v[96:97], -v[106:107]
	v_add_f64 v[84:85], v[80:81], v[84:85]
	v_fma_f64 v[120:121], v[62:63], v[78:79], v[60:61]
	v_add_nc_u32_e32 v60, 0x1540, v100
	s_clause 0x3
	global_load_dwordx4 v[62:65], v60, s[2:3] offset:1840
	global_load_dwordx4 v[66:69], v60, s[2:3] offset:1824
	;; [unrolled: 1-line block ×4, first 2 shown]
	v_add_f64 v[78:79], v[112:113], -v[110:111]
	s_waitcnt vmcnt(0) lgkmcnt(8)
	v_mul_f64 v[60:61], v[58:59], v[76:77]
	v_fma_f64 v[122:123], v[56:57], v[74:75], -v[60:61]
	v_mul_f64 v[56:57], v[56:57], v[76:77]
	buffer_store_dword v74, off, s[60:63], 0 offset:1744 ; 4-byte Folded Spill
	buffer_store_dword v75, off, s[60:63], 0 offset:1748 ; 4-byte Folded Spill
	buffer_store_dword v76, off, s[60:63], 0 offset:1752 ; 4-byte Folded Spill
	buffer_store_dword v77, off, s[60:63], 0 offset:1756 ; 4-byte Folded Spill
	v_add_f64 v[76:77], v[110:111], -v[112:113]
	v_fma_f64 v[150:151], v[58:59], v[74:75], v[56:57]
	s_waitcnt lgkmcnt(7)
	v_mul_f64 v[56:57], v[54:55], v[72:73]
	v_add_f64 v[74:75], v[134:135], -v[136:137]
	v_fma_f64 v[126:127], v[52:53], v[70:71], -v[56:57]
	v_mul_f64 v[52:53], v[52:53], v[72:73]
	buffer_store_dword v70, off, s[60:63], 0 offset:1728 ; 4-byte Folded Spill
	buffer_store_dword v71, off, s[60:63], 0 offset:1732 ; 4-byte Folded Spill
	buffer_store_dword v72, off, s[60:63], 0 offset:1736 ; 4-byte Folded Spill
	buffer_store_dword v73, off, s[60:63], 0 offset:1740 ; 4-byte Folded Spill
	v_add_f64 v[72:73], v[132:133], -v[140:141]
	v_fma_f64 v[172:173], v[54:55], v[70:71], v[52:53]
	s_waitcnt lgkmcnt(6)
	v_mul_f64 v[52:53], v[50:51], v[68:69]
	v_add_f64 v[70:71], v[136:137], -v[140:141]
	;; [unrolled: 11-line block ×3, first 2 shown]
	v_fma_f64 v[222:223], v[44:45], v[62:63], -v[48:49]
	v_mul_f64 v[44:45], v[44:45], v[64:65]
	buffer_store_dword v62, off, s[60:63], 0 offset:1696 ; 4-byte Folded Spill
	buffer_store_dword v63, off, s[60:63], 0 offset:1700 ; 4-byte Folded Spill
	buffer_store_dword v64, off, s[60:63], 0 offset:1704 ; 4-byte Folded Spill
	buffer_store_dword v65, off, s[60:63], 0 offset:1708 ; 4-byte Folded Spill
	v_add_f64 v[64:65], v[132:133], -v[134:135]
	v_add_f64 v[68:69], v[64:65], v[68:69]
	v_fma_f64 v[200:201], v[46:47], v[62:63], v[44:45]
	v_add_nc_u32_e32 v44, 0x1980, v100
	s_clause 0x3
	global_load_dwordx4 v[46:49], v44, s[2:3] offset:1840
	global_load_dwordx4 v[50:53], v44, s[2:3] offset:1824
	;; [unrolled: 1-line block ×4, first 2 shown]
	s_mov_b32 s2, 0x372fe950
	s_mov_b32 s3, 0x3fd3c6ef
	v_add_f64 v[62:63], v[138:139], -v[142:143]
	s_waitcnt vmcnt(0) lgkmcnt(3)
	v_mul_f64 v[44:45], v[42:43], v[60:61]
	v_fma_f64 v[250:251], v[40:41], v[58:59], -v[44:45]
	v_mul_f64 v[40:41], v[40:41], v[60:61]
	buffer_store_dword v58, off, s[60:63], 0 offset:1808 ; 4-byte Folded Spill
	buffer_store_dword v59, off, s[60:63], 0 offset:1812 ; 4-byte Folded Spill
	;; [unrolled: 1-line block ×4, first 2 shown]
	v_add_f64 v[44:45], v[164:165], -v[166:167]
	v_add_f64 v[60:61], v[142:143], -v[138:139]
	v_fma_f64 v[202:203], v[42:43], v[58:59], v[40:41]
	s_waitcnt lgkmcnt(2)
	v_mul_f64 v[40:41], v[34:35], v[56:57]
	v_add_f64 v[42:43], v[168:169], -v[170:171]
	v_add_f64 v[58:59], v[158:159], -v[152:153]
	v_fma_f64 v[100:101], v[32:33], v[54:55], -v[40:41]
	v_mul_f64 v[32:33], v[32:33], v[56:57]
	buffer_store_dword v54, off, s[60:63], 0 offset:1792 ; 4-byte Folded Spill
	buffer_store_dword v55, off, s[60:63], 0 offset:1796 ; 4-byte Folded Spill
	;; [unrolled: 1-line block ×4, first 2 shown]
	v_add_f64 v[40:41], v[176:177], -v[170:171]
	v_add_f64 v[56:57], v[156:157], -v[154:155]
	v_fma_f64 v[244:245], v[34:35], v[54:55], v[32:33]
	s_waitcnt lgkmcnt(1)
	v_mul_f64 v[32:33], v[26:27], v[52:53]
	v_add_f64 v[34:35], v[166:167], -v[160:161]
	v_add_f64 v[54:55], v[152:153], -v[154:155]
	v_fma_f64 v[102:103], v[24:25], v[50:51], -v[32:33]
	v_mul_f64 v[24:25], v[24:25], v[52:53]
	buffer_store_dword v50, off, s[60:63], 0 offset:1776 ; 4-byte Folded Spill
	buffer_store_dword v51, off, s[60:63], 0 offset:1780 ; 4-byte Folded Spill
	;; [unrolled: 1-line block ×4, first 2 shown]
	v_add_f64 v[32:33], v[254:255], -v[168:169]
	v_add_f64 v[52:53], v[154:155], -v[152:153]
	v_add_f64 v[32:33], v[32:33], v[40:41]
	v_add_f64 v[40:41], v[170:171], -v[176:177]
	v_fma_f64 v[246:247], v[26:27], v[50:51], v[24:25]
	s_waitcnt lgkmcnt(0)
	v_mul_f64 v[24:25], v[22:23], v[48:49]
	v_add_f64 v[26:27], v[164:165], -v[162:163]
	v_add_f64 v[50:51], v[146:147], -v[138:139]
	v_fma_f64 v[104:105], v[20:21], v[46:47], -v[24:25]
	v_mul_f64 v[20:21], v[20:21], v[48:49]
	buffer_store_dword v46, off, s[60:63], 0 offset:1760 ; 4-byte Folded Spill
	buffer_store_dword v47, off, s[60:63], 0 offset:1764 ; 4-byte Folded Spill
	;; [unrolled: 1-line block ×4, first 2 shown]
	v_add_f64 v[48:49], v[156:157], -v[158:159]
	buffer_store_dword v205, off, s[60:63], 0 offset:1108 ; 4-byte Folded Spill
	v_lshl_add_u32 v205, v178, 4, v205
	v_add_f64 v[52:53], v[48:49], v[52:53]
	v_fma_f64 v[248:249], v[22:23], v[46:47], v[20:21]
	v_add_f64 v[22:23], v[168:169], v[170:171]
	v_add_f64 v[20:21], v[28:29], v[254:255]
	v_add_f64 v[46:47], v[162:163], -v[160:161]
	v_fma_f64 v[22:23], v[22:23], -0.5, v[28:29]
	v_add_f64 v[20:21], v[20:21], v[168:169]
	v_add_f64 v[44:45], v[44:45], v[46:47]
	v_add_f64 v[46:47], v[160:161], -v[162:163]
	v_fma_f64 v[24:25], v[26:27], s[14:15], v[22:23]
	v_fma_f64 v[22:23], v[26:27], s[12:13], v[22:23]
	v_add_f64 v[20:21], v[20:21], v[170:171]
	v_fma_f64 v[24:25], v[34:35], s[0:1], v[24:25]
	v_fma_f64 v[22:23], v[34:35], s[16:17], v[22:23]
	v_add_f64 v[20:21], v[20:21], v[176:177]
	;; [unrolled: 3-line block ×3, first 2 shown]
	v_add_f64 v[32:33], v[168:169], -v[254:255]
	v_fma_f64 v[22:23], v[22:23], -0.5, v[28:29]
	v_add_f64 v[40:41], v[32:33], v[40:41]
	v_fma_f64 v[28:29], v[34:35], s[12:13], v[22:23]
	v_fma_f64 v[22:23], v[34:35], s[14:15], v[22:23]
	;; [unrolled: 1-line block ×4, first 2 shown]
	v_add_f64 v[26:27], v[166:167], v[160:161]
	v_fma_f64 v[32:33], v[40:41], s[2:3], v[28:29]
	v_fma_f64 v[28:29], v[40:41], s[2:3], v[22:23]
	v_fma_f64 v[26:27], v[26:27], -0.5, v[30:31]
	v_add_f64 v[40:41], v[254:255], -v[176:177]
	v_add_f64 v[22:23], v[30:31], v[164:165]
	v_fma_f64 v[34:35], v[40:41], s[12:13], v[26:27]
	v_fma_f64 v[26:27], v[40:41], s[14:15], v[26:27]
	v_add_f64 v[22:23], v[22:23], v[166:167]
	v_fma_f64 v[34:35], v[42:43], s[16:17], v[34:35]
	v_fma_f64 v[26:27], v[42:43], s[0:1], v[26:27]
	v_add_f64 v[22:23], v[22:23], v[160:161]
	v_fma_f64 v[254:255], v[44:45], s[2:3], v[34:35]
	v_add_f64 v[34:35], v[164:165], v[162:163]
	v_fma_f64 v[26:27], v[44:45], s[2:3], v[26:27]
	v_add_f64 v[44:45], v[166:167], -v[164:165]
	v_add_f64 v[22:23], v[22:23], v[162:163]
	v_fma_f64 v[30:31], v[34:35], -0.5, v[30:31]
	v_add_f64 v[44:45], v[44:45], v[46:47]
	v_add_f64 v[46:47], v[144:145], -v[142:143]
	ds_write_b128 v204, v[20:23]
	v_fma_f64 v[34:35], v[42:43], s[14:15], v[30:31]
	v_fma_f64 v[30:31], v[42:43], s[12:13], v[30:31]
	v_add_f64 v[42:43], v[158:159], v[152:153]
	v_fma_f64 v[34:35], v[40:41], s[16:17], v[34:35]
	v_fma_f64 v[30:31], v[40:41], s[0:1], v[30:31]
	v_fma_f64 v[42:43], v[42:43], -0.5, v[36:37]
	v_add_f64 v[40:41], v[36:37], v[156:157]
	v_fma_f64 v[34:35], v[44:45], s[2:3], v[34:35]
	v_fma_f64 v[30:31], v[44:45], s[2:3], v[30:31]
	;; [unrolled: 1-line block ×4, first 2 shown]
	v_add_f64 v[40:41], v[40:41], v[158:159]
	v_fma_f64 v[44:45], v[50:51], s[0:1], v[44:45]
	v_fma_f64 v[42:43], v[50:51], s[16:17], v[42:43]
	v_add_f64 v[40:41], v[40:41], v[152:153]
	v_fma_f64 v[48:49], v[52:53], s[2:3], v[44:45]
	v_fma_f64 v[44:45], v[52:53], s[2:3], v[42:43]
	v_add_f64 v[42:43], v[156:157], v[154:155]
	v_add_f64 v[52:53], v[158:159], -v[156:157]
	v_add_f64 v[40:41], v[40:41], v[154:155]
	v_fma_f64 v[36:37], v[42:43], -0.5, v[36:37]
	v_add_f64 v[54:55], v[52:53], v[54:55]
	v_fma_f64 v[42:43], v[50:51], s[12:13], v[36:37]
	v_fma_f64 v[36:37], v[50:51], s[14:15], v[36:37]
	;; [unrolled: 1-line block ×4, first 2 shown]
	v_add_f64 v[46:47], v[146:147], v[138:139]
	v_fma_f64 v[52:53], v[54:55], s[2:3], v[42:43]
	v_fma_f64 v[36:37], v[54:55], s[2:3], v[36:37]
	v_fma_f64 v[46:47], v[46:47], -0.5, v[38:39]
	v_add_f64 v[54:55], v[144:145], -v[146:147]
	v_add_f64 v[42:43], v[38:39], v[144:145]
	v_fma_f64 v[50:51], v[56:57], s[12:13], v[46:47]
	v_fma_f64 v[46:47], v[56:57], s[14:15], v[46:47]
	v_add_f64 v[54:55], v[54:55], v[60:61]
	v_add_f64 v[60:61], v[146:147], -v[144:145]
	v_add_f64 v[42:43], v[42:43], v[146:147]
	v_fma_f64 v[50:51], v[58:59], s[16:17], v[50:51]
	v_fma_f64 v[46:47], v[58:59], s[0:1], v[46:47]
	v_add_f64 v[60:61], v[60:61], v[62:63]
	v_add_f64 v[62:63], v[128:129], -v[110:111]
	v_add_f64 v[42:43], v[42:43], v[138:139]
	v_add_f64 v[138:139], v[246:247], -v[248:249]
	v_fma_f64 v[50:51], v[54:55], s[2:3], v[50:51]
	v_fma_f64 v[46:47], v[54:55], s[2:3], v[46:47]
	v_add_f64 v[54:55], v[144:145], v[142:143]
	v_add_f64 v[42:43], v[42:43], v[142:143]
	v_fma_f64 v[38:39], v[54:55], -0.5, v[38:39]
	v_fma_f64 v[54:55], v[58:59], s[14:15], v[38:39]
	v_fma_f64 v[38:39], v[58:59], s[12:13], v[38:39]
	v_add_f64 v[58:59], v[134:135], v[136:137]
	v_fma_f64 v[54:55], v[56:57], s[16:17], v[54:55]
	v_fma_f64 v[38:39], v[56:57], s[0:1], v[38:39]
	v_fma_f64 v[58:59], v[58:59], -0.5, v[16:17]
	v_add_f64 v[56:57], v[16:17], v[132:133]
	v_fma_f64 v[54:55], v[60:61], s[2:3], v[54:55]
	v_fma_f64 v[38:39], v[60:61], s[2:3], v[38:39]
	;; [unrolled: 1-line block ×4, first 2 shown]
	v_add_f64 v[56:57], v[56:57], v[134:135]
	v_fma_f64 v[60:61], v[66:67], s[0:1], v[60:61]
	v_fma_f64 v[58:59], v[66:67], s[16:17], v[58:59]
	v_add_f64 v[56:57], v[56:57], v[136:137]
	v_add_f64 v[136:137], v[102:103], -v[104:105]
	v_fma_f64 v[64:65], v[68:69], s[2:3], v[60:61]
	v_fma_f64 v[60:61], v[68:69], s[2:3], v[58:59]
	v_add_f64 v[58:59], v[132:133], v[140:141]
	v_add_f64 v[68:69], v[134:135], -v[132:133]
	v_add_f64 v[132:133], v[250:251], -v[100:101]
	;; [unrolled: 1-line block ×3, first 2 shown]
	v_add_f64 v[56:57], v[56:57], v[140:141]
	v_fma_f64 v[16:17], v[58:59], -0.5, v[16:17]
	v_add_f64 v[70:71], v[68:69], v[70:71]
	v_add_f64 v[132:133], v[132:133], v[134:135]
	v_add_f64 v[134:135], v[100:101], -v[250:251]
	v_fma_f64 v[58:59], v[66:67], s[12:13], v[16:17]
	v_fma_f64 v[16:17], v[66:67], s[14:15], v[16:17]
	v_add_f64 v[134:135], v[134:135], v[136:137]
	v_fma_f64 v[58:59], v[62:63], s[0:1], v[58:59]
	v_fma_f64 v[16:17], v[62:63], s[16:17], v[16:17]
	v_add_f64 v[62:63], v[130:131], v[112:113]
	v_fma_f64 v[68:69], v[70:71], s[2:3], v[58:59]
	v_fma_f64 v[16:17], v[70:71], s[2:3], v[16:17]
	v_fma_f64 v[62:63], v[62:63], -0.5, v[18:19]
	v_add_f64 v[70:71], v[128:129], -v[130:131]
	v_add_f64 v[58:59], v[18:19], v[128:129]
	v_fma_f64 v[66:67], v[72:73], s[12:13], v[62:63]
	v_fma_f64 v[62:63], v[72:73], s[14:15], v[62:63]
	v_add_f64 v[70:71], v[70:71], v[76:77]
	v_add_f64 v[58:59], v[58:59], v[130:131]
	v_add_f64 v[76:77], v[130:131], -v[128:129]
	v_add_f64 v[130:131], v[174:175], -v[200:201]
	v_fma_f64 v[66:67], v[74:75], s[16:17], v[66:67]
	v_fma_f64 v[62:63], v[74:75], s[0:1], v[62:63]
	v_add_f64 v[58:59], v[58:59], v[112:113]
	v_add_f64 v[76:77], v[76:77], v[78:79]
	v_add_f64 v[78:79], v[90:91], -v[88:89]
	v_add_f64 v[112:113], v[108:109], -v[82:83]
	;; [unrolled: 6-line block ×3, first 2 shown]
	v_fma_f64 v[18:19], v[70:71], -0.5, v[18:19]
	v_fma_f64 v[70:71], v[74:75], s[14:15], v[18:19]
	v_fma_f64 v[18:19], v[74:75], s[12:13], v[18:19]
	v_add_f64 v[74:75], v[106:107], v[108:109]
	v_fma_f64 v[70:71], v[72:73], s[16:17], v[70:71]
	v_fma_f64 v[18:19], v[72:73], s[0:1], v[18:19]
	v_fma_f64 v[74:75], v[74:75], -0.5, v[12:13]
	v_add_f64 v[72:73], v[12:13], v[96:97]
	v_fma_f64 v[70:71], v[76:77], s[2:3], v[70:71]
	v_fma_f64 v[18:19], v[76:77], s[2:3], v[18:19]
	;; [unrolled: 1-line block ×4, first 2 shown]
	v_add_f64 v[72:73], v[72:73], v[106:107]
	v_fma_f64 v[76:77], v[110:111], s[0:1], v[76:77]
	v_fma_f64 v[74:75], v[110:111], s[16:17], v[74:75]
	v_add_f64 v[72:73], v[72:73], v[108:109]
	v_fma_f64 v[80:81], v[84:85], s[2:3], v[76:77]
	v_fma_f64 v[76:77], v[84:85], s[2:3], v[74:75]
	v_add_f64 v[74:75], v[96:97], v[82:83]
	v_add_f64 v[84:85], v[106:107], -v[96:97]
	v_add_f64 v[96:97], v[96:97], -v[82:83]
	v_add_f64 v[72:73], v[72:73], v[82:83]
	v_add_f64 v[106:107], v[106:107], -v[108:109]
	v_add_f64 v[108:109], v[90:91], -v[92:93]
	v_fma_f64 v[12:13], v[74:75], -0.5, v[12:13]
	v_add_f64 v[112:113], v[84:85], v[112:113]
	v_fma_f64 v[74:75], v[110:111], s[12:13], v[12:13]
	v_fma_f64 v[12:13], v[110:111], s[14:15], v[12:13]
	v_add_f64 v[110:111], v[88:89], -v[86:87]
	v_fma_f64 v[74:75], v[78:79], s[0:1], v[74:75]
	v_fma_f64 v[12:13], v[78:79], s[16:17], v[12:13]
	v_add_f64 v[78:79], v[92:93], v[86:87]
	v_add_f64 v[108:109], v[108:109], v[110:111]
	v_add_f64 v[110:111], v[148:149], -v[124:125]
	v_fma_f64 v[84:85], v[112:113], s[2:3], v[74:75]
	v_add_f64 v[74:75], v[14:15], v[90:91]
	v_fma_f64 v[78:79], v[78:79], -0.5, v[14:15]
	v_fma_f64 v[12:13], v[112:113], s[2:3], v[12:13]
	v_add_f64 v[112:113], v[124:125], -v[148:149]
	v_add_f64 v[74:75], v[74:75], v[92:93]
	v_fma_f64 v[82:83], v[96:97], s[12:13], v[78:79]
	v_fma_f64 v[78:79], v[96:97], s[14:15], v[78:79]
	v_add_f64 v[74:75], v[74:75], v[86:87]
	v_fma_f64 v[82:83], v[106:107], s[16:17], v[82:83]
	v_fma_f64 v[78:79], v[106:107], s[0:1], v[78:79]
	v_add_f64 v[86:87], v[86:87], -v[88:89]
	v_add_f64 v[74:75], v[74:75], v[88:89]
	v_fma_f64 v[82:83], v[108:109], s[2:3], v[82:83]
	v_fma_f64 v[78:79], v[108:109], s[2:3], v[78:79]
	v_add_f64 v[108:109], v[90:91], v[88:89]
	v_add_f64 v[90:91], v[92:93], -v[90:91]
	v_fma_f64 v[14:15], v[108:109], -0.5, v[14:15]
	v_add_f64 v[88:89], v[90:91], v[86:87]
	v_add_f64 v[90:91], v[98:99], v[124:125]
	v_fma_f64 v[108:109], v[106:107], s[14:15], v[14:15]
	v_fma_f64 v[14:15], v[106:107], s[12:13], v[14:15]
	v_fma_f64 v[90:91], v[90:91], -0.5, v[8:9]
	v_add_f64 v[106:107], v[114:115], -v[120:121]
	v_fma_f64 v[108:109], v[96:97], s[16:17], v[108:109]
	v_fma_f64 v[14:15], v[96:97], s[0:1], v[14:15]
	v_add_f64 v[96:97], v[94:95], -v[98:99]
	v_fma_f64 v[92:93], v[106:107], s[14:15], v[90:91]
	v_fma_f64 v[90:91], v[106:107], s[12:13], v[90:91]
	;; [unrolled: 1-line block ×3, first 2 shown]
	v_add_f64 v[108:109], v[116:117], -v[118:119]
	v_add_f64 v[110:111], v[96:97], v[110:111]
	v_fma_f64 v[14:15], v[88:89], s[2:3], v[14:15]
	v_add_f64 v[88:89], v[8:9], v[94:95]
	v_fma_f64 v[92:93], v[108:109], s[0:1], v[92:93]
	v_fma_f64 v[90:91], v[108:109], s[16:17], v[90:91]
	v_add_f64 v[88:89], v[88:89], v[98:99]
	v_fma_f64 v[96:97], v[110:111], s[2:3], v[92:93]
	v_fma_f64 v[92:93], v[110:111], s[2:3], v[90:91]
	v_add_f64 v[90:91], v[94:95], v[148:149]
	v_add_f64 v[110:111], v[98:99], -v[94:95]
	v_add_f64 v[88:89], v[88:89], v[124:125]
	v_fma_f64 v[8:9], v[90:91], -0.5, v[8:9]
	v_add_f64 v[110:111], v[110:111], v[112:113]
	v_add_f64 v[88:89], v[88:89], v[148:149]
	v_fma_f64 v[90:91], v[108:109], s[12:13], v[8:9]
	v_fma_f64 v[8:9], v[108:109], s[14:15], v[8:9]
	v_add_f64 v[108:109], v[94:95], -v[148:149]
	v_fma_f64 v[90:91], v[106:107], s[0:1], v[90:91]
	v_fma_f64 v[8:9], v[106:107], s[16:17], v[8:9]
	v_add_f64 v[106:107], v[116:117], v[118:119]
	v_fma_f64 v[112:113], v[110:111], s[2:3], v[90:91]
	v_fma_f64 v[8:9], v[110:111], s[2:3], v[8:9]
	v_fma_f64 v[106:107], v[106:107], -0.5, v[10:11]
	v_add_f64 v[110:111], v[98:99], -v[124:125]
	v_add_f64 v[98:99], v[114:115], -v[116:117]
	v_add_f64 v[124:125], v[120:121], -v[118:119]
	v_add_f64 v[90:91], v[10:11], v[114:115]
	v_fma_f64 v[94:95], v[108:109], s[12:13], v[106:107]
	v_add_f64 v[124:125], v[98:99], v[124:125]
	v_add_f64 v[90:91], v[90:91], v[116:117]
	v_fma_f64 v[94:95], v[110:111], s[16:17], v[94:95]
	v_add_f64 v[90:91], v[90:91], v[118:119]
	v_fma_f64 v[98:99], v[124:125], s[2:3], v[94:95]
	v_fma_f64 v[94:95], v[108:109], s[14:15], v[106:107]
	v_add_f64 v[106:107], v[114:115], v[120:121]
	v_add_f64 v[114:115], v[116:117], -v[114:115]
	v_add_f64 v[116:117], v[118:119], -v[120:121]
	v_add_f64 v[90:91], v[90:91], v[120:121]
	v_add_f64 v[118:119], v[172:173], -v[174:175]
	v_add_f64 v[120:121], v[122:123], -v[126:127]
	v_fma_f64 v[94:95], v[110:111], s[0:1], v[94:95]
	v_fma_f64 v[10:11], v[106:107], -0.5, v[10:11]
	v_add_f64 v[116:117], v[114:115], v[116:117]
	v_fma_f64 v[94:95], v[124:125], s[2:3], v[94:95]
	v_fma_f64 v[106:107], v[110:111], s[14:15], v[10:11]
	;; [unrolled: 1-line block ×3, first 2 shown]
	v_add_f64 v[124:125], v[222:223], -v[220:221]
	v_fma_f64 v[106:107], v[108:109], s[16:17], v[106:107]
	v_fma_f64 v[10:11], v[108:109], s[0:1], v[10:11]
	v_add_f64 v[108:109], v[150:151], -v[200:201]
	v_add_f64 v[120:121], v[120:121], v[124:125]
	v_fma_f64 v[114:115], v[116:117], s[2:3], v[106:107]
	v_add_f64 v[106:107], v[4:5], v[122:123]
	v_fma_f64 v[10:11], v[116:117], s[2:3], v[10:11]
	v_add_f64 v[106:107], v[106:107], v[126:127]
	v_add_f64 v[106:107], v[106:107], v[220:221]
	;; [unrolled: 1-line block ×4, first 2 shown]
	v_fma_f64 v[106:107], v[106:107], -0.5, v[4:5]
	v_fma_f64 v[110:111], v[108:109], s[14:15], v[106:107]
	v_fma_f64 v[106:107], v[108:109], s[12:13], v[106:107]
	;; [unrolled: 1-line block ×6, first 2 shown]
	v_add_f64 v[106:107], v[122:123], v[222:223]
	v_add_f64 v[110:111], v[126:127], -v[122:123]
	v_fma_f64 v[4:5], v[106:107], -0.5, v[4:5]
	v_add_f64 v[110:111], v[110:111], v[128:129]
	v_add_f64 v[128:129], v[126:127], -v[220:221]
	v_add_f64 v[126:127], v[200:201], -v[174:175]
	v_fma_f64 v[106:107], v[118:119], s[12:13], v[4:5]
	v_fma_f64 v[4:5], v[118:119], s[14:15], v[4:5]
	v_fma_f64 v[106:107], v[108:109], s[0:1], v[106:107]
	v_fma_f64 v[4:5], v[108:109], s[16:17], v[4:5]
	v_add_f64 v[108:109], v[122:123], -v[222:223]
	v_add_f64 v[122:123], v[150:151], -v[172:173]
	v_fma_f64 v[148:149], v[110:111], s[2:3], v[106:107]
	v_add_f64 v[106:107], v[6:7], v[150:151]
	v_fma_f64 v[4:5], v[110:111], s[2:3], v[4:5]
	v_add_f64 v[122:123], v[122:123], v[126:127]
	v_add_f64 v[106:107], v[106:107], v[172:173]
	v_add_f64 v[106:107], v[106:107], v[174:175]
	v_add_f64 v[118:119], v[106:107], v[200:201]
	v_add_f64 v[106:107], v[172:173], v[174:175]
	v_fma_f64 v[106:107], v[106:107], -0.5, v[6:7]
	v_fma_f64 v[110:111], v[108:109], s[12:13], v[106:107]
	v_fma_f64 v[106:107], v[108:109], s[14:15], v[106:107]
	;; [unrolled: 1-line block ×6, first 2 shown]
	v_add_f64 v[106:107], v[150:151], v[200:201]
	v_add_f64 v[110:111], v[172:173], -v[150:151]
	v_fma_f64 v[6:7], v[106:107], -0.5, v[6:7]
	v_add_f64 v[110:111], v[110:111], v[130:131]
	v_add_f64 v[130:131], v[244:245], -v[246:247]
	v_fma_f64 v[106:107], v[128:129], s[14:15], v[6:7]
	v_fma_f64 v[6:7], v[128:129], s[12:13], v[6:7]
	;; [unrolled: 1-line block ×4, first 2 shown]
	v_add_f64 v[108:109], v[100:101], v[102:103]
	v_fma_f64 v[150:151], v[110:111], s[2:3], v[106:107]
	v_fma_f64 v[6:7], v[110:111], s[2:3], v[6:7]
	v_fma_f64 v[108:109], v[108:109], -0.5, v[0:1]
	v_add_f64 v[110:111], v[202:203], -v[248:249]
	v_add_f64 v[106:107], v[0:1], v[250:251]
	v_fma_f64 v[128:129], v[110:111], s[14:15], v[108:109]
	v_fma_f64 v[108:109], v[110:111], s[12:13], v[108:109]
	v_add_f64 v[106:107], v[106:107], v[100:101]
	v_add_f64 v[100:101], v[100:101], -v[102:103]
	v_fma_f64 v[128:129], v[130:131], s[0:1], v[128:129]
	v_fma_f64 v[108:109], v[130:131], s[16:17], v[108:109]
	v_add_f64 v[106:107], v[106:107], v[102:103]
	v_fma_f64 v[128:129], v[132:133], s[2:3], v[128:129]
	v_fma_f64 v[132:133], v[132:133], s[2:3], v[108:109]
	v_add_f64 v[108:109], v[250:251], v[104:105]
	v_add_f64 v[106:107], v[106:107], v[104:105]
	v_add_f64 v[104:105], v[250:251], -v[104:105]
	v_fma_f64 v[108:109], v[108:109], -0.5, v[0:1]
	v_fma_f64 v[0:1], v[130:131], s[12:13], v[108:109]
	v_fma_f64 v[108:109], v[130:131], s[14:15], v[108:109]
	v_fma_f64 v[0:1], v[110:111], s[0:1], v[0:1]
	v_fma_f64 v[108:109], v[110:111], s[16:17], v[108:109]
	v_add_f64 v[110:111], v[244:245], v[246:247]
	v_fma_f64 v[0:1], v[134:135], s[2:3], v[0:1]
	v_fma_f64 v[136:137], v[134:135], s[2:3], v[108:109]
	v_fma_f64 v[110:111], v[110:111], -0.5, v[2:3]
	v_add_f64 v[134:135], v[248:249], -v[246:247]
	v_add_f64 v[108:109], v[2:3], v[202:203]
	v_fma_f64 v[130:131], v[104:105], s[12:13], v[110:111]
	v_add_f64 v[108:109], v[108:109], v[244:245]
	v_fma_f64 v[102:103], v[100:101], s[16:17], v[130:131]
	v_add_f64 v[130:131], v[202:203], -v[244:245]
	v_add_f64 v[108:109], v[108:109], v[246:247]
	v_add_f64 v[134:135], v[130:131], v[134:135]
	v_add_f64 v[108:109], v[108:109], v[248:249]
	v_fma_f64 v[130:131], v[134:135], s[2:3], v[102:103]
	v_fma_f64 v[102:103], v[104:105], s[14:15], v[110:111]
	v_add_f64 v[110:111], v[244:245], -v[202:203]
	v_fma_f64 v[102:103], v[100:101], s[0:1], v[102:103]
	v_add_f64 v[110:111], v[110:111], v[138:139]
	v_fma_f64 v[134:135], v[134:135], s[2:3], v[102:103]
	v_add_f64 v[102:103], v[202:203], v[248:249]
	v_fma_f64 v[102:103], v[102:103], -0.5, v[2:3]
	v_fma_f64 v[2:3], v[100:101], s[14:15], v[102:103]
	v_fma_f64 v[100:101], v[100:101], s[12:13], v[102:103]
	s_mov_b32 s12, 0x5476071b
	s_mov_b32 s13, 0x3fe77f67
	;; [unrolled: 1-line block ×4, first 2 shown]
	v_fma_f64 v[2:3], v[104:105], s[16:17], v[2:3]
	v_fma_f64 v[100:101], v[104:105], s[0:1], v[100:101]
	s_mov_b32 s16, 0xb247c609
	s_mov_b32 s17, 0xbfd5d0dc
	;; [unrolled: 1-line block ×3, first 2 shown]
	v_fma_f64 v[2:3], v[110:111], s[2:3], v[2:3]
	v_fma_f64 v[138:139], v[110:111], s[2:3], v[100:101]
	ds_write_b128 v205, v[252:255] offset:1904
	ds_write_b128 v205, v[32:35] offset:3808
	;; [unrolled: 1-line block ×34, first 2 shown]
	v_lshlrev_b32_e32 v8, 4, v178
	s_waitcnt lgkmcnt(0)
	s_waitcnt_vscnt null, 0x0
	s_barrier
	buffer_gl0_inv
	ds_read_b128 v[0:3], v204
	global_load_dwordx4 v[9:12], v8, s[6:7]
	v_add_co_u32 v6, s0, s6, v8
	v_add_co_ci_u32_e64 v7, null, s7, 0, s0
	s_mov_b32 s2, 0x429ad128
	s_mov_b32 s3, 0xbfebfeb5
	s_waitcnt vmcnt(0) lgkmcnt(0)
	v_mul_f64 v[4:5], v[2:3], v[11:12]
	v_fma_f64 v[13:14], v[0:1], v[9:10], -v[4:5]
	v_mul_f64 v[0:1], v[0:1], v[11:12]
	v_fma_f64 v[15:16], v[2:3], v[9:10], v[0:1]
	global_load_dwordx4 v[9:12], v8, s[6:7] offset:1360
	ds_read_b128 v[0:3], v204 offset:1360
	ds_write_b128 v204, v[13:16]
	s_waitcnt vmcnt(0) lgkmcnt(1)
	v_mul_f64 v[4:5], v[2:3], v[11:12]
	v_fma_f64 v[13:14], v[0:1], v[9:10], -v[4:5]
	v_mul_f64 v[0:1], v[0:1], v[11:12]
	v_fma_f64 v[15:16], v[2:3], v[9:10], v[0:1]
	v_add_co_u32 v2, s0, 0x800, v6
	v_add_co_ci_u32_e64 v3, s0, 0, v7, s0
	ds_read_b128 v[9:12], v204 offset:2720
	v_add_co_u32 v4, s0, 0x1000, v6
	v_add_co_ci_u32_e64 v5, s0, 0, v7, s0
	ds_write_b128 v204, v[13:16] offset:1360
	global_load_dwordx4 v[13:16], v[2:3], off offset:672
	s_waitcnt vmcnt(0) lgkmcnt(1)
	v_mul_f64 v[0:1], v[11:12], v[15:16]
	v_fma_f64 v[17:18], v[9:10], v[13:14], -v[0:1]
	v_mul_f64 v[0:1], v[9:10], v[15:16]
	v_fma_f64 v[19:20], v[11:12], v[13:14], v[0:1]
	global_load_dwordx4 v[13:16], v[2:3], off offset:2032
	ds_read_b128 v[9:12], v204 offset:4080
	ds_write_b128 v204, v[17:20] offset:2720
	s_waitcnt vmcnt(0) lgkmcnt(1)
	v_mul_f64 v[0:1], v[11:12], v[15:16]
	v_fma_f64 v[17:18], v[9:10], v[13:14], -v[0:1]
	v_mul_f64 v[0:1], v[9:10], v[15:16]
	v_fma_f64 v[19:20], v[11:12], v[13:14], v[0:1]
	global_load_dwordx4 v[13:16], v[4:5], off offset:1344
	ds_read_b128 v[9:12], v204 offset:5440
	ds_write_b128 v204, v[17:20] offset:4080
	s_waitcnt vmcnt(0) lgkmcnt(1)
	v_mul_f64 v[0:1], v[11:12], v[15:16]
	v_fma_f64 v[17:18], v[9:10], v[13:14], -v[0:1]
	v_mul_f64 v[0:1], v[9:10], v[15:16]
	v_fma_f64 v[19:20], v[11:12], v[13:14], v[0:1]
	v_add_co_u32 v0, s0, 0x1800, v6
	v_add_co_ci_u32_e64 v1, s0, 0, v7, s0
	ds_read_b128 v[9:12], v204 offset:6800
	v_add_co_u32 v6, s0, 0x2000, v6
	global_load_dwordx4 v[13:16], v[0:1], off offset:656
	v_add_co_ci_u32_e64 v7, s0, 0, v7, s0
	s_mov_b32 s0, 0x37c3f68c
	s_mov_b32 s1, 0xbfdc38aa
	ds_write_b128 v204, v[17:20] offset:5440
	s_waitcnt vmcnt(0) lgkmcnt(1)
	v_mul_f64 v[17:18], v[11:12], v[15:16]
	v_fma_f64 v[17:18], v[9:10], v[13:14], -v[17:18]
	v_mul_f64 v[9:10], v[9:10], v[15:16]
	v_fma_f64 v[19:20], v[11:12], v[13:14], v[9:10]
	global_load_dwordx4 v[13:16], v[0:1], off offset:2016
	ds_read_b128 v[9:12], v204 offset:8160
	ds_write_b128 v204, v[17:20] offset:6800
	s_waitcnt vmcnt(0) lgkmcnt(1)
	v_mul_f64 v[17:18], v[11:12], v[15:16]
	v_fma_f64 v[17:18], v[9:10], v[13:14], -v[17:18]
	v_mul_f64 v[9:10], v[9:10], v[15:16]
	v_fma_f64 v[19:20], v[11:12], v[13:14], v[9:10]
	global_load_dwordx4 v[13:16], v8, s[6:7] offset:272
	ds_read_b128 v[9:12], v204 offset:272
	ds_write_b128 v204, v[17:20] offset:8160
	s_waitcnt vmcnt(0) lgkmcnt(1)
	v_mul_f64 v[17:18], v[11:12], v[15:16]
	v_fma_f64 v[17:18], v[9:10], v[13:14], -v[17:18]
	v_mul_f64 v[9:10], v[9:10], v[15:16]
	v_fma_f64 v[19:20], v[11:12], v[13:14], v[9:10]
	global_load_dwordx4 v[13:16], v8, s[6:7] offset:1632
	ds_read_b128 v[9:12], v204 offset:1632
	ds_write_b128 v204, v[17:20] offset:272
	s_waitcnt vmcnt(0) lgkmcnt(1)
	v_mul_f64 v[17:18], v[11:12], v[15:16]
	v_fma_f64 v[17:18], v[9:10], v[13:14], -v[17:18]
	v_mul_f64 v[9:10], v[9:10], v[15:16]
	v_fma_f64 v[19:20], v[11:12], v[13:14], v[9:10]
	global_load_dwordx4 v[13:16], v[2:3], off offset:944
	ds_read_b128 v[9:12], v204 offset:2992
	ds_write_b128 v204, v[17:20] offset:1632
	s_waitcnt vmcnt(0) lgkmcnt(1)
	v_mul_f64 v[17:18], v[11:12], v[15:16]
	v_fma_f64 v[17:18], v[9:10], v[13:14], -v[17:18]
	v_mul_f64 v[9:10], v[9:10], v[15:16]
	v_fma_f64 v[19:20], v[11:12], v[13:14], v[9:10]
	global_load_dwordx4 v[13:16], v[4:5], off offset:256
	;; [unrolled: 8-line block ×5, first 2 shown]
	ds_read_b128 v[9:12], v204 offset:8432
	ds_write_b128 v204, v[17:20] offset:7072
	s_waitcnt vmcnt(0) lgkmcnt(1)
	v_mul_f64 v[17:18], v[11:12], v[15:16]
	v_fma_f64 v[17:18], v[9:10], v[13:14], -v[17:18]
	v_mul_f64 v[9:10], v[9:10], v[15:16]
	v_fma_f64 v[19:20], v[11:12], v[13:14], v[9:10]
	global_load_dwordx4 v[13:16], v8, s[6:7] offset:544
	ds_read_b128 v[9:12], v204 offset:544
	ds_write_b128 v204, v[17:20] offset:8432
	s_waitcnt vmcnt(0) lgkmcnt(1)
	v_mul_f64 v[17:18], v[11:12], v[15:16]
	v_fma_f64 v[17:18], v[9:10], v[13:14], -v[17:18]
	v_mul_f64 v[9:10], v[9:10], v[15:16]
	v_fma_f64 v[19:20], v[11:12], v[13:14], v[9:10]
	global_load_dwordx4 v[13:16], v8, s[6:7] offset:1904
	ds_read_b128 v[9:12], v204 offset:1904
	ds_write_b128 v204, v[17:20] offset:544
	s_waitcnt vmcnt(0) lgkmcnt(1)
	v_mul_f64 v[17:18], v[11:12], v[15:16]
	v_fma_f64 v[17:18], v[9:10], v[13:14], -v[17:18]
	v_mul_f64 v[9:10], v[9:10], v[15:16]
	v_fma_f64 v[19:20], v[11:12], v[13:14], v[9:10]
	global_load_dwordx4 v[13:16], v[2:3], off offset:1216
	ds_read_b128 v[9:12], v204 offset:3264
	ds_write_b128 v204, v[17:20] offset:1904
	s_waitcnt vmcnt(0) lgkmcnt(1)
	v_mul_f64 v[17:18], v[11:12], v[15:16]
	v_fma_f64 v[17:18], v[9:10], v[13:14], -v[17:18]
	v_mul_f64 v[9:10], v[9:10], v[15:16]
	v_fma_f64 v[19:20], v[11:12], v[13:14], v[9:10]
	global_load_dwordx4 v[13:16], v[4:5], off offset:528
	;; [unrolled: 8-line block ×4, first 2 shown]
	ds_read_b128 v[9:12], v204 offset:7344
	ds_write_b128 v204, v[17:20] offset:5984
	s_waitcnt vmcnt(0) lgkmcnt(1)
	v_mul_f64 v[17:18], v[11:12], v[15:16]
	v_fma_f64 v[17:18], v[9:10], v[13:14], -v[17:18]
	v_mul_f64 v[9:10], v[9:10], v[15:16]
	v_fma_f64 v[19:20], v[11:12], v[13:14], v[9:10]
	buffer_load_dword v13, off, s[60:63], 0 offset:1368 ; 4-byte Folded Reload
	ds_read_b128 v[9:12], v204 offset:8704
	ds_write_b128 v204, v[17:20] offset:7344
	s_waitcnt vmcnt(0)
	global_load_dwordx4 v[13:16], v13, s[6:7]
	s_waitcnt vmcnt(0) lgkmcnt(1)
	v_mul_f64 v[17:18], v[11:12], v[15:16]
	v_fma_f64 v[17:18], v[9:10], v[13:14], -v[17:18]
	v_mul_f64 v[9:10], v[9:10], v[15:16]
	v_fma_f64 v[19:20], v[11:12], v[13:14], v[9:10]
	global_load_dwordx4 v[13:16], v8, s[6:7] offset:816
	ds_read_b128 v[9:12], v204 offset:816
	ds_write_b128 v204, v[17:20] offset:8704
	s_waitcnt vmcnt(0) lgkmcnt(1)
	v_mul_f64 v[17:18], v[11:12], v[15:16]
	v_fma_f64 v[17:18], v[9:10], v[13:14], -v[17:18]
	v_mul_f64 v[9:10], v[9:10], v[15:16]
	v_fma_f64 v[19:20], v[11:12], v[13:14], v[9:10]
	global_load_dwordx4 v[13:16], v[2:3], off offset:128
	ds_read_b128 v[9:12], v204 offset:2176
	ds_write_b128 v204, v[17:20] offset:816
	s_waitcnt vmcnt(0) lgkmcnt(1)
	v_mul_f64 v[17:18], v[11:12], v[15:16]
	v_fma_f64 v[17:18], v[9:10], v[13:14], -v[17:18]
	v_mul_f64 v[9:10], v[9:10], v[15:16]
	v_fma_f64 v[19:20], v[11:12], v[13:14], v[9:10]
	global_load_dwordx4 v[13:16], v[2:3], off offset:1488
	;; [unrolled: 8-line block ×6, first 2 shown]
	ds_read_b128 v[9:12], v204 offset:8976
	ds_write_b128 v204, v[17:20] offset:7616
	s_waitcnt vmcnt(0) lgkmcnt(1)
	v_mul_f64 v[17:18], v[11:12], v[15:16]
	v_fma_f64 v[17:18], v[9:10], v[13:14], -v[17:18]
	v_mul_f64 v[9:10], v[9:10], v[15:16]
	v_fma_f64 v[19:20], v[11:12], v[13:14], v[9:10]
	global_load_dwordx4 v[13:16], v8, s[6:7] offset:1088
	ds_read_b128 v[9:12], v204 offset:1088
	s_mov_b32 s6, 0x36b3c0b5
	s_mov_b32 s7, 0x3fac98ee
	ds_write_b128 v204, v[17:20] offset:8976
	s_waitcnt vmcnt(0) lgkmcnt(1)
	v_mul_f64 v[17:18], v[11:12], v[15:16]
	v_fma_f64 v[17:18], v[9:10], v[13:14], -v[17:18]
	v_mul_f64 v[8:9], v[9:10], v[15:16]
	v_fma_f64 v[19:20], v[11:12], v[13:14], v[8:9]
	global_load_dwordx4 v[12:15], v[2:3], off offset:400
	ds_read_b128 v[8:11], v204 offset:2448
	ds_write_b128 v204, v[17:20] offset:1088
	s_waitcnt vmcnt(0) lgkmcnt(1)
	v_mul_f64 v[16:17], v[10:11], v[14:15]
	v_fma_f64 v[16:17], v[8:9], v[12:13], -v[16:17]
	v_mul_f64 v[8:9], v[8:9], v[14:15]
	v_fma_f64 v[18:19], v[10:11], v[12:13], v[8:9]
	global_load_dwordx4 v[12:15], v[2:3], off offset:1760
	ds_read_b128 v[8:11], v204 offset:3808
	;; [unrolled: 8-line block ×3, first 2 shown]
	ds_write_b128 v204, v[16:19] offset:3808
	s_waitcnt vmcnt(0) lgkmcnt(1)
	v_mul_f64 v[12:13], v[10:11], v[4:5]
	v_mul_f64 v[4:5], v[8:9], v[4:5]
	v_fma_f64 v[12:13], v[8:9], v[2:3], -v[12:13]
	v_fma_f64 v[14:15], v[10:11], v[2:3], v[4:5]
	global_load_dwordx4 v[8:11], v[0:1], off offset:384
	ds_read_b128 v[2:5], v204 offset:6528
	ds_write_b128 v204, v[12:15] offset:5168
	s_waitcnt vmcnt(0) lgkmcnt(1)
	v_mul_f64 v[12:13], v[4:5], v[10:11]
	v_fma_f64 v[12:13], v[2:3], v[8:9], -v[12:13]
	v_mul_f64 v[2:3], v[2:3], v[10:11]
	v_fma_f64 v[14:15], v[4:5], v[8:9], v[2:3]
	global_load_dwordx4 v[8:11], v[0:1], off offset:1744
	ds_read_b128 v[2:5], v204 offset:7888
	ds_write_b128 v204, v[12:15] offset:6528
	s_waitcnt vmcnt(0) lgkmcnt(1)
	v_mul_f64 v[0:1], v[4:5], v[10:11]
	v_fma_f64 v[0:1], v[2:3], v[8:9], -v[0:1]
	v_mul_f64 v[2:3], v[2:3], v[10:11]
	v_fma_f64 v[2:3], v[4:5], v[8:9], v[2:3]
	global_load_dwordx4 v[4:7], v[6:7], off offset:1056
	ds_write_b128 v204, v[0:3] offset:7888
	ds_read_b128 v[0:3], v204 offset:9248
	s_waitcnt vmcnt(0) lgkmcnt(0)
	v_mul_f64 v[8:9], v[2:3], v[6:7]
	v_fma_f64 v[8:9], v[0:1], v[4:5], -v[8:9]
	v_mul_f64 v[0:1], v[0:1], v[6:7]
	v_fma_f64 v[10:11], v[2:3], v[4:5], v[0:1]
	ds_write_b128 v204, v[8:11] offset:9248
	s_waitcnt lgkmcnt(0)
	s_barrier
	buffer_gl0_inv
	ds_read_b128 v[0:3], v204
	ds_read_b128 v[4:7], v204 offset:1360
	ds_read_b128 v[8:11], v204 offset:2720
	;; [unrolled: 1-line block ×34, first 2 shown]
	s_waitcnt lgkmcnt(28)
	v_add_f64 v[100:101], v[4:5], v[24:25]
	v_add_f64 v[102:103], v[6:7], v[26:27]
	v_add_f64 v[4:5], v[4:5], -v[24:25]
	v_add_f64 v[6:7], v[6:7], -v[26:27]
	v_add_f64 v[24:25], v[8:9], v[20:21]
	v_add_f64 v[26:27], v[10:11], v[22:23]
	v_add_f64 v[8:9], v[8:9], -v[20:21]
	v_add_f64 v[10:11], v[10:11], -v[22:23]
	;; [unrolled: 4-line block ×3, first 2 shown]
	s_waitcnt lgkmcnt(0)
	s_barrier
	buffer_gl0_inv
	v_add_f64 v[134:135], v[202:203], -v[174:175]
	v_add_f64 v[16:17], v[24:25], v[100:101]
	v_add_f64 v[18:19], v[26:27], v[102:103]
	v_add_f64 v[104:105], v[24:25], -v[100:101]
	v_add_f64 v[106:107], v[26:27], -v[102:103]
	;; [unrolled: 1-line block ×6, first 2 shown]
	v_add_f64 v[108:109], v[12:13], v[8:9]
	v_add_f64 v[110:111], v[14:15], v[10:11]
	v_add_f64 v[128:129], v[12:13], -v[8:9]
	v_add_f64 v[130:131], v[14:15], -v[10:11]
	;; [unrolled: 1-line block ×6, first 2 shown]
	v_add_f64 v[16:17], v[20:21], v[16:17]
	v_add_f64 v[18:19], v[22:23], v[18:19]
	v_mul_f64 v[20:21], v[100:101], s[24:25]
	v_mul_f64 v[22:23], v[102:103], s[24:25]
	;; [unrolled: 1-line block ×4, first 2 shown]
	v_add_f64 v[4:5], v[108:109], v[4:5]
	v_add_f64 v[6:7], v[110:111], v[6:7]
	v_mul_f64 v[108:109], v[128:129], s[22:23]
	v_mul_f64 v[110:111], v[130:131], s[22:23]
	v_mul_f64 v[128:129], v[8:9], s[2:3]
	v_mul_f64 v[130:131], v[10:11], s[2:3]
	v_add_f64 v[0:1], v[0:1], v[16:17]
	v_add_f64 v[2:3], v[2:3], v[18:19]
	v_fma_f64 v[24:25], v[24:25], s[6:7], v[20:21]
	v_fma_f64 v[26:27], v[26:27], s[6:7], v[22:23]
	v_fma_f64 v[100:101], v[104:105], s[12:13], -v[100:101]
	v_fma_f64 v[102:103], v[106:107], s[12:13], -v[102:103]
	;; [unrolled: 1-line block ×6, first 2 shown]
	v_fma_f64 v[104:105], v[12:13], s[16:17], v[108:109]
	v_fma_f64 v[106:107], v[14:15], s[16:17], v[110:111]
	v_fma_f64 v[12:13], v[12:13], s[18:19], -v[128:129]
	v_fma_f64 v[14:15], v[14:15], s[18:19], -v[130:131]
	v_fma_f64 v[16:17], v[16:17], s[20:21], v[0:1]
	v_fma_f64 v[18:19], v[18:19], s[20:21], v[2:3]
	;; [unrolled: 1-line block ×8, first 2 shown]
	v_add_f64 v[100:101], v[100:101], v[16:17]
	v_add_f64 v[102:103], v[102:103], v[18:19]
	;; [unrolled: 1-line block ×6, first 2 shown]
	v_add_f64 v[16:17], v[100:101], -v[10:11]
	v_add_f64 v[18:19], v[8:9], v[102:103]
	v_add_f64 v[12:13], v[100:101], v[10:11]
	v_add_f64 v[14:15], v[102:103], -v[8:9]
	v_add_f64 v[100:101], v[32:33], v[52:53]
	v_add_f64 v[102:103], v[34:35], v[54:55]
	v_add_f64 v[32:33], v[32:33], -v[52:53]
	v_add_f64 v[34:35], v[34:35], -v[54:55]
	v_add_f64 v[52:53], v[40:41], v[48:49]
	v_add_f64 v[54:55], v[42:43], v[50:51]
	v_add_f64 v[40:41], v[40:41], -v[48:49]
	;; [unrolled: 4-line block ×3, first 2 shown]
	v_add_f64 v[38:39], v[46:47], -v[38:39]
	v_add_f64 v[24:25], v[108:109], v[106:107]
	v_add_f64 v[26:27], v[110:111], -v[104:105]
	v_add_f64 v[20:21], v[128:129], v[6:7]
	v_add_f64 v[22:23], v[130:131], -v[4:5]
	v_add_f64 v[8:9], v[128:129], -v[6:7]
	v_add_f64 v[10:11], v[4:5], v[130:131]
	v_add_f64 v[4:5], v[108:109], -v[106:107]
	v_add_f64 v[6:7], v[104:105], v[110:111]
	v_add_f64 v[44:45], v[52:53], v[100:101]
	;; [unrolled: 1-line block ×3, first 2 shown]
	v_add_f64 v[104:105], v[52:53], -v[100:101]
	v_add_f64 v[106:107], v[54:55], -v[102:103]
	;; [unrolled: 1-line block ×6, first 2 shown]
	v_add_f64 v[108:109], v[36:37], v[40:41]
	v_add_f64 v[110:111], v[38:39], v[42:43]
	v_add_f64 v[128:129], v[36:37], -v[40:41]
	v_add_f64 v[130:131], v[38:39], -v[42:43]
	;; [unrolled: 1-line block ×6, first 2 shown]
	v_add_f64 v[44:45], v[48:49], v[44:45]
	v_add_f64 v[46:47], v[50:51], v[46:47]
	v_mul_f64 v[48:49], v[100:101], s[24:25]
	v_mul_f64 v[50:51], v[102:103], s[24:25]
	;; [unrolled: 1-line block ×4, first 2 shown]
	v_add_f64 v[32:33], v[108:109], v[32:33]
	v_add_f64 v[34:35], v[110:111], v[34:35]
	v_mul_f64 v[108:109], v[128:129], s[22:23]
	v_mul_f64 v[110:111], v[130:131], s[22:23]
	;; [unrolled: 1-line block ×4, first 2 shown]
	v_add_f64 v[28:29], v[28:29], v[44:45]
	v_add_f64 v[30:31], v[30:31], v[46:47]
	v_fma_f64 v[52:53], v[52:53], s[6:7], v[48:49]
	v_fma_f64 v[54:55], v[54:55], s[6:7], v[50:51]
	v_fma_f64 v[100:101], v[104:105], s[12:13], -v[100:101]
	v_fma_f64 v[102:103], v[106:107], s[12:13], -v[102:103]
	;; [unrolled: 1-line block ×6, first 2 shown]
	v_fma_f64 v[104:105], v[36:37], s[16:17], v[108:109]
	v_fma_f64 v[106:107], v[38:39], s[16:17], v[110:111]
	v_fma_f64 v[36:37], v[36:37], s[18:19], -v[128:129]
	v_fma_f64 v[38:39], v[38:39], s[18:19], -v[130:131]
	v_fma_f64 v[44:45], v[44:45], s[20:21], v[28:29]
	v_fma_f64 v[46:47], v[46:47], s[20:21], v[30:31]
	;; [unrolled: 1-line block ×8, first 2 shown]
	v_add_f64 v[100:101], v[100:101], v[44:45]
	v_add_f64 v[102:103], v[102:103], v[46:47]
	;; [unrolled: 1-line block ×6, first 2 shown]
	v_add_f64 v[44:45], v[100:101], -v[40:41]
	v_add_f64 v[46:47], v[132:133], v[102:103]
	v_add_f64 v[40:41], v[100:101], v[40:41]
	v_add_f64 v[42:43], v[102:103], -v[132:133]
	v_add_f64 v[100:101], v[64:65], v[80:81]
	v_add_f64 v[102:103], v[66:67], v[82:83]
	v_add_f64 v[64:65], v[64:65], -v[80:81]
	v_add_f64 v[66:67], v[66:67], -v[82:83]
	v_add_f64 v[80:81], v[60:61], v[76:77]
	v_add_f64 v[82:83], v[62:63], v[78:79]
	v_add_f64 v[60:61], v[60:61], -v[76:77]
	;; [unrolled: 4-line block ×3, first 2 shown]
	v_add_f64 v[70:71], v[74:75], -v[70:71]
	v_add_f64 v[52:53], v[108:109], v[106:107]
	v_add_f64 v[54:55], v[110:111], -v[104:105]
	v_add_f64 v[48:49], v[128:129], v[34:35]
	v_add_f64 v[50:51], v[130:131], -v[32:33]
	v_add_f64 v[36:37], v[128:129], -v[34:35]
	v_add_f64 v[38:39], v[32:33], v[130:131]
	v_add_f64 v[32:33], v[108:109], -v[106:107]
	v_add_f64 v[34:35], v[104:105], v[110:111]
	v_add_f64 v[72:73], v[80:81], v[100:101]
	;; [unrolled: 1-line block ×3, first 2 shown]
	v_add_f64 v[104:105], v[80:81], -v[100:101]
	v_add_f64 v[106:107], v[82:83], -v[102:103]
	;; [unrolled: 1-line block ×6, first 2 shown]
	v_add_f64 v[108:109], v[68:69], v[60:61]
	v_add_f64 v[110:111], v[70:71], v[62:63]
	v_add_f64 v[128:129], v[68:69], -v[60:61]
	v_add_f64 v[130:131], v[70:71], -v[62:63]
	;; [unrolled: 1-line block ×6, first 2 shown]
	v_add_f64 v[72:73], v[76:77], v[72:73]
	v_add_f64 v[74:75], v[78:79], v[74:75]
	v_mul_f64 v[76:77], v[100:101], s[24:25]
	v_mul_f64 v[78:79], v[102:103], s[24:25]
	;; [unrolled: 1-line block ×4, first 2 shown]
	v_add_f64 v[64:65], v[108:109], v[64:65]
	v_add_f64 v[66:67], v[110:111], v[66:67]
	v_mul_f64 v[108:109], v[128:129], s[22:23]
	v_mul_f64 v[110:111], v[130:131], s[22:23]
	;; [unrolled: 1-line block ×4, first 2 shown]
	v_add_f64 v[56:57], v[56:57], v[72:73]
	v_add_f64 v[58:59], v[58:59], v[74:75]
	v_fma_f64 v[80:81], v[80:81], s[6:7], v[76:77]
	v_fma_f64 v[82:83], v[82:83], s[6:7], v[78:79]
	v_fma_f64 v[100:101], v[104:105], s[12:13], -v[100:101]
	v_fma_f64 v[102:103], v[106:107], s[12:13], -v[102:103]
	;; [unrolled: 1-line block ×4, first 2 shown]
	v_fma_f64 v[104:105], v[68:69], s[16:17], v[108:109]
	v_fma_f64 v[106:107], v[70:71], s[16:17], v[110:111]
	v_fma_f64 v[60:61], v[60:61], s[2:3], -v[108:109]
	v_fma_f64 v[62:63], v[62:63], s[2:3], -v[110:111]
	;; [unrolled: 1-line block ×4, first 2 shown]
	v_fma_f64 v[72:73], v[72:73], s[20:21], v[56:57]
	v_fma_f64 v[74:75], v[74:75], s[20:21], v[58:59]
	;; [unrolled: 1-line block ×8, first 2 shown]
	v_add_f64 v[108:109], v[80:81], v[72:73]
	v_add_f64 v[110:111], v[82:83], v[74:75]
	;; [unrolled: 1-line block ×7, first 2 shown]
	v_add_f64 v[82:83], v[110:111], -v[104:105]
	v_add_f64 v[76:77], v[100:101], -v[62:63]
	v_add_f64 v[78:79], v[60:61], v[102:103]
	v_add_f64 v[68:69], v[100:101], v[62:63]
	v_add_f64 v[70:71], v[102:103], -v[60:61]
	v_add_f64 v[60:61], v[108:109], -v[106:107]
	v_add_f64 v[62:63], v[104:105], v[110:111]
	v_add_f64 v[100:101], v[88:89], v[120:121]
	;; [unrolled: 1-line block ×5, first 2 shown]
	v_add_f64 v[88:89], v[88:89], -v[120:121]
	v_add_f64 v[96:97], v[96:97], -v[116:117]
	v_add_f64 v[108:109], v[92:93], v[112:113]
	v_add_f64 v[110:111], v[94:95], v[114:115]
	v_add_f64 v[92:93], v[112:113], -v[92:93]
	v_add_f64 v[94:95], v[114:115], -v[94:95]
	v_add_f64 v[72:73], v[128:129], v[64:65]
	v_add_f64 v[64:65], v[128:129], -v[64:65]
	v_add_f64 v[90:91], v[90:91], -v[122:123]
	;; [unrolled: 1-line block ×4, first 2 shown]
	v_add_f64 v[66:67], v[132:133], v[130:131]
	v_add_f64 v[112:113], v[104:105], v[100:101]
	;; [unrolled: 1-line block ×3, first 2 shown]
	v_add_f64 v[116:117], v[104:105], -v[100:101]
	v_add_f64 v[118:119], v[106:107], -v[102:103]
	;; [unrolled: 1-line block ×6, first 2 shown]
	v_add_f64 v[120:121], v[92:93], v[96:97]
	v_add_f64 v[128:129], v[92:93], -v[96:97]
	v_add_f64 v[96:97], v[96:97], -v[88:89]
	v_add_f64 v[122:123], v[94:95], v[98:99]
	v_add_f64 v[130:131], v[94:95], -v[98:99]
	v_add_f64 v[92:93], v[88:89], -v[92:93]
	;; [unrolled: 1-line block ×4, first 2 shown]
	v_add_f64 v[108:109], v[108:109], v[112:113]
	v_add_f64 v[110:111], v[110:111], v[114:115]
	v_mul_f64 v[100:101], v[100:101], s[24:25]
	v_mul_f64 v[102:103], v[102:103], s[24:25]
	;; [unrolled: 1-line block ×4, first 2 shown]
	v_add_f64 v[88:89], v[120:121], v[88:89]
	v_mul_f64 v[120:121], v[128:129], s[22:23]
	v_mul_f64 v[128:129], v[96:97], s[2:3]
	v_add_f64 v[90:91], v[122:123], v[90:91]
	v_mul_f64 v[122:123], v[130:131], s[22:23]
	v_mul_f64 v[130:131], v[98:99], s[2:3]
	v_add_f64 v[84:85], v[84:85], v[108:109]
	v_add_f64 v[86:87], v[86:87], v[110:111]
	v_fma_f64 v[104:105], v[104:105], s[6:7], v[100:101]
	v_fma_f64 v[106:107], v[106:107], s[6:7], v[102:103]
	v_fma_f64 v[112:113], v[116:117], s[12:13], -v[112:113]
	v_fma_f64 v[114:115], v[118:119], s[12:13], -v[114:115]
	;; [unrolled: 1-line block ×4, first 2 shown]
	v_fma_f64 v[116:117], v[92:93], s[16:17], v[120:121]
	v_fma_f64 v[96:97], v[96:97], s[2:3], -v[120:121]
	v_fma_f64 v[92:93], v[92:93], s[18:19], -v[128:129]
	v_fma_f64 v[118:119], v[94:95], s[16:17], v[122:123]
	v_fma_f64 v[98:99], v[98:99], s[2:3], -v[122:123]
	v_fma_f64 v[94:95], v[94:95], s[18:19], -v[130:131]
	v_fma_f64 v[108:109], v[108:109], s[20:21], v[84:85]
	v_fma_f64 v[110:111], v[110:111], s[20:21], v[86:87]
	;; [unrolled: 1-line block ×4, first 2 shown]
	v_add_f64 v[104:105], v[104:105], v[108:109]
	v_add_f64 v[128:129], v[112:113], v[108:109]
	;; [unrolled: 1-line block ×5, first 2 shown]
	v_fma_f64 v[108:109], v[88:89], s[0:1], v[116:117]
	v_fma_f64 v[88:89], v[88:89], s[0:1], v[92:93]
	v_add_f64 v[106:107], v[106:107], v[110:111]
	v_fma_f64 v[110:111], v[90:91], s[0:1], v[118:119]
	v_fma_f64 v[90:91], v[90:91], s[0:1], v[94:95]
	v_add_f64 v[112:113], v[128:129], -v[96:97]
	v_add_f64 v[114:115], v[132:133], v[130:131]
	v_add_f64 v[98:99], v[130:131], -v[132:133]
	v_add_f64 v[130:131], v[126:127], v[246:247]
	v_add_f64 v[96:97], v[128:129], v[96:97]
	v_add_f64 v[118:119], v[102:103], -v[88:89]
	v_add_f64 v[94:95], v[88:89], v[102:103]
	v_add_f64 v[102:103], v[126:127], -v[246:247]
	v_add_f64 v[126:127], v[150:151], v[222:223]
	v_add_f64 v[120:121], v[104:105], v[110:111]
	v_add_f64 v[122:123], v[106:107], -v[108:109]
	v_add_f64 v[116:117], v[100:101], v[90:91]
	v_add_f64 v[92:93], v[100:101], -v[90:91]
	v_add_f64 v[88:89], v[104:105], -v[110:111]
	v_add_f64 v[90:91], v[108:109], v[106:107]
	v_add_f64 v[128:129], v[124:125], v[244:245]
	v_add_f64 v[100:101], v[124:125], -v[244:245]
	v_add_f64 v[124:125], v[148:149], v[220:221]
	v_add_f64 v[108:109], v[148:149], -v[220:221]
	;; [unrolled: 6-line block ×3, first 2 shown]
	v_add_f64 v[136:137], v[124:125], v[128:129]
	v_add_f64 v[140:141], v[124:125], -v[128:129]
	v_add_f64 v[146:147], v[134:135], v[110:111]
	v_add_f64 v[128:129], v[128:129], -v[106:107]
	v_add_f64 v[130:131], v[130:131], -v[104:105]
	;; [unrolled: 1-line block ×4, first 2 shown]
	v_add_f64 v[144:145], v[132:133], v[108:109]
	v_add_f64 v[148:149], v[132:133], -v[108:109]
	v_add_f64 v[108:109], v[108:109], -v[100:101]
	;; [unrolled: 1-line block ×5, first 2 shown]
	v_add_f64 v[104:105], v[104:105], v[138:139]
	v_add_f64 v[110:111], v[110:111], -v[102:103]
	v_add_f64 v[106:107], v[106:107], v[136:137]
	v_add_f64 v[138:139], v[146:147], v[102:103]
	v_mul_f64 v[128:129], v[128:129], s[24:25]
	v_mul_f64 v[130:131], v[130:131], s[24:25]
	;; [unrolled: 1-line block ×3, first 2 shown]
	v_add_f64 v[136:137], v[144:145], v[100:101]
	v_mul_f64 v[144:145], v[124:125], s[6:7]
	v_mul_f64 v[148:149], v[148:149], s[22:23]
	;; [unrolled: 1-line block ×4, first 2 shown]
	v_add_f64 v[102:103], v[254:255], v[104:105]
	v_mul_f64 v[154:155], v[110:111], s[2:3]
	v_add_f64 v[100:101], v[252:253], v[106:107]
	v_fma_f64 v[124:125], v[124:125], s[6:7], v[128:129]
	v_fma_f64 v[126:127], v[126:127], s[6:7], v[130:131]
	v_fma_f64 v[128:129], v[140:141], s[14:15], -v[128:129]
	v_fma_f64 v[130:131], v[142:143], s[14:15], -v[130:131]
	;; [unrolled: 1-line block ×4, first 2 shown]
	v_fma_f64 v[140:141], v[132:133], s[16:17], v[148:149]
	v_fma_f64 v[108:109], v[108:109], s[2:3], -v[148:149]
	v_fma_f64 v[132:133], v[132:133], s[18:19], -v[152:153]
	v_fma_f64 v[142:143], v[134:135], s[16:17], v[150:151]
	v_fma_f64 v[104:105], v[104:105], s[20:21], v[102:103]
	v_fma_f64 v[110:111], v[110:111], s[2:3], -v[150:151]
	v_fma_f64 v[134:135], v[134:135], s[18:19], -v[154:155]
	v_fma_f64 v[106:107], v[106:107], s[20:21], v[100:101]
	v_fma_f64 v[140:141], v[136:137], s[0:1], v[140:141]
	;; [unrolled: 1-line block ×3, first 2 shown]
	v_add_f64 v[154:155], v[130:131], v[104:105]
	v_fma_f64 v[130:131], v[136:137], s[0:1], v[108:109]
	v_fma_f64 v[136:137], v[136:137], s[0:1], v[132:133]
	;; [unrolled: 1-line block ×3, first 2 shown]
	v_add_f64 v[150:151], v[126:127], v[104:105]
	v_add_f64 v[146:147], v[146:147], v[104:105]
	;; [unrolled: 1-line block ×3, first 2 shown]
	v_fma_f64 v[128:129], v[138:139], s[0:1], v[110:111]
	v_add_f64 v[148:149], v[124:125], v[106:107]
	v_add_f64 v[144:145], v[144:145], v[106:107]
	v_add_f64 v[110:111], v[154:155], -v[136:137]
	v_add_f64 v[134:135], v[136:137], v[154:155]
	buffer_load_dword v136, off, s[60:63], 0 offset:896 ; 4-byte Folded Reload
	v_add_f64 v[106:107], v[150:151], -v[140:141]
	v_add_f64 v[126:127], v[130:131], v[146:147]
	v_add_f64 v[130:131], v[146:147], -v[130:131]
	v_add_f64 v[254:255], v[140:141], v[150:151]
	v_add_f64 v[108:109], v[152:153], v[132:133]
	v_add_f64 v[132:133], v[152:153], -v[132:133]
	v_add_f64 v[104:105], v[148:149], v[142:143]
	v_add_f64 v[124:125], v[144:145], -v[128:129]
	;; [unrolled: 2-line block ×3, first 2 shown]
	s_waitcnt vmcnt(0)
	ds_write_b128 v136, v[0:3]
	ds_write_b128 v136, v[24:27] offset:16
	ds_write_b128 v136, v[20:23] offset:32
	ds_write_b128 v136, v[16:19] offset:48
	ds_write_b128 v136, v[12:15] offset:64
	ds_write_b128 v136, v[8:11] offset:80
	ds_write_b128 v136, v[4:7] offset:96
	buffer_load_dword v0, off, s[60:63], 0 offset:1284 ; 4-byte Folded Reload
	s_waitcnt vmcnt(0)
	ds_write_b128 v0, v[28:31]
	ds_write_b128 v0, v[52:55] offset:16
	ds_write_b128 v0, v[48:51] offset:32
	ds_write_b128 v0, v[44:47] offset:48
	ds_write_b128 v0, v[40:43] offset:64
	ds_write_b128 v0, v[36:39] offset:80
	ds_write_b128 v0, v[32:35] offset:96
	buffer_load_dword v0, off, s[60:63], 0 offset:1248 ; 4-byte Folded Reload
	;; [unrolled: 9-line block ×4, first 2 shown]
	s_waitcnt vmcnt(0)
	ds_write_b128 v0, v[100:103]
	ds_write_b128 v0, v[104:107] offset:16
	ds_write_b128 v0, v[108:111] offset:32
	;; [unrolled: 1-line block ×6, first 2 shown]
	s_waitcnt lgkmcnt(0)
	s_barrier
	buffer_gl0_inv
	ds_read_b128 v[4:7], v204
	ds_read_b128 v[244:247], v204 offset:560
	ds_read_b128 v[220:223], v204 offset:1120
	;; [unrolled: 1-line block ×33, first 2 shown]
	s_and_saveexec_b32 s0, vcc_lo
	s_cbranch_execz .LBB0_7
; %bb.6:
	buffer_load_dword v100, off, s[60:63], 0 offset:1108 ; 4-byte Folded Reload
	ds_read_b128 v[252:255], v204 offset:544
	s_waitcnt vmcnt(0)
	ds_read_b128 v[101:104], v100 offset:1104
	s_waitcnt lgkmcnt(0)
	buffer_store_dword v101, off, s[60:63], 0 offset:4 ; 4-byte Folded Spill
	buffer_store_dword v102, off, s[60:63], 0 offset:8 ; 4-byte Folded Spill
	buffer_store_dword v103, off, s[60:63], 0 offset:12 ; 4-byte Folded Spill
	buffer_store_dword v104, off, s[60:63], 0 offset:16 ; 4-byte Folded Spill
	ds_read_b128 v[101:104], v100 offset:1664
	s_waitcnt lgkmcnt(0)
	buffer_store_dword v101, off, s[60:63], 0 offset:20 ; 4-byte Folded Spill
	buffer_store_dword v102, off, s[60:63], 0 offset:24 ; 4-byte Folded Spill
	buffer_store_dword v103, off, s[60:63], 0 offset:28 ; 4-byte Folded Spill
	buffer_store_dword v104, off, s[60:63], 0 offset:32 ; 4-byte Folded Spill
	;; [unrolled: 6-line block ×16, first 2 shown]
.LBB0_7:
	s_or_b32 exec_lo, exec_lo, s0
	s_clause 0x3
	buffer_load_dword v102, off, s[60:63], 0 offset:1192
	buffer_load_dword v103, off, s[60:63], 0 offset:1196
	;; [unrolled: 1-line block ×4, first 2 shown]
	s_mov_b32 s46, 0x5d8e7cdc
	s_mov_b32 s0, 0x370991
	;; [unrolled: 1-line block ×48, first 2 shown]
	s_waitcnt vmcnt(0) lgkmcnt(32)
	v_mul_f64 v[100:101], v[104:105], v[246:247]
	v_fma_f64 v[248:249], v[102:103], v[244:245], v[100:101]
	v_mul_f64 v[100:101], v[104:105], v[244:245]
	v_fma_f64 v[132:133], v[102:103], v[246:247], -v[100:101]
	s_clause 0x3
	buffer_load_dword v102, off, s[60:63], 0 offset:1128
	buffer_load_dword v103, off, s[60:63], 0 offset:1132
	buffer_load_dword v104, off, s[60:63], 0 offset:1136
	buffer_load_dword v105, off, s[60:63], 0 offset:1140
	s_waitcnt vmcnt(0) lgkmcnt(31)
	v_mul_f64 v[100:101], v[104:105], v[222:223]
	v_fma_f64 v[244:245], v[102:103], v[220:221], v[100:101]
	v_mul_f64 v[100:101], v[104:105], v[220:221]
	v_fma_f64 v[220:221], v[102:103], v[222:223], -v[100:101]
	s_clause 0x3
	buffer_load_dword v102, off, s[60:63], 0 offset:1112
	buffer_load_dword v103, off, s[60:63], 0 offset:1116
	buffer_load_dword v104, off, s[60:63], 0 offset:1120
	buffer_load_dword v105, off, s[60:63], 0 offset:1124
	;; [unrolled: 10-line block ×4, first 2 shown]
	s_waitcnt vmcnt(0) lgkmcnt(28)
	v_mul_f64 v[100:101], v[104:105], v[150:151]
	v_fma_f64 v[152:153], v[102:103], v[148:149], v[100:101]
	v_mul_f64 v[100:101], v[104:105], v[148:149]
	s_clause 0x7
	buffer_load_dword v104, off, s[60:63], 0 offset:1176
	buffer_load_dword v105, off, s[60:63], 0 offset:1180
	;; [unrolled: 1-line block ×8, first 2 shown]
	v_fma_f64 v[154:155], v[102:103], v[150:151], -v[100:101]
	s_waitcnt vmcnt(4) lgkmcnt(27)
	v_mul_f64 v[102:103], v[106:107], v[124:125]
	v_mul_f64 v[100:101], v[106:107], v[126:127]
	v_fma_f64 v[146:147], v[104:105], v[126:127], -v[102:103]
	s_clause 0x7
	buffer_load_dword v126, off, s[60:63], 0 offset:1076
	buffer_load_dword v127, off, s[60:63], 0 offset:1080
	;; [unrolled: 1-line block ×8, first 2 shown]
	v_fma_f64 v[172:173], v[104:105], v[124:125], v[100:101]
	s_waitcnt vmcnt(8) lgkmcnt(26)
	v_mul_f64 v[100:101], v[110:111], v[122:123]
	v_mul_f64 v[102:103], v[110:111], v[120:121]
	v_fma_f64 v[130:131], v[108:109], v[122:123], -v[102:103]
	s_clause 0x7
	buffer_load_dword v122, off, s[60:63], 0 offset:1012
	buffer_load_dword v123, off, s[60:63], 0 offset:1016
	;; [unrolled: 1-line block ×8, first 2 shown]
	s_waitcnt vmcnt(12) lgkmcnt(25)
	v_mul_f64 v[104:105], v[128:129], v[118:119]
	v_mul_f64 v[106:107], v[128:129], v[116:117]
	v_fma_f64 v[128:129], v[108:109], v[120:121], v[100:101]
	s_waitcnt vmcnt(8) lgkmcnt(24)
	v_mul_f64 v[100:101], v[136:137], v[114:115]
	v_mul_f64 v[102:103], v[136:137], v[112:113]
	v_fma_f64 v[110:111], v[126:127], v[116:117], v[104:105]
	v_add_f64 v[116:117], v[4:5], v[248:249]
	v_fma_f64 v[148:149], v[134:135], v[112:113], v[100:101]
	v_fma_f64 v[150:151], v[134:135], v[114:115], -v[102:103]
	s_clause 0xb
	buffer_load_dword v134, off, s[60:63], 0 offset:964
	buffer_load_dword v135, off, s[60:63], 0 offset:968
	;; [unrolled: 1-line block ×12, first 2 shown]
	s_waitcnt vmcnt(16) lgkmcnt(23)
	v_mul_f64 v[108:109], v[124:125], v[98:99]
	v_mul_f64 v[120:121], v[124:125], v[96:97]
	v_fma_f64 v[124:125], v[126:127], v[118:119], -v[106:107]
	s_waitcnt vmcnt(12) lgkmcnt(22)
	v_mul_f64 v[104:105], v[144:145], v[94:95]
	v_mul_f64 v[106:107], v[144:145], v[92:93]
	v_add_f64 v[118:119], v[6:7], v[132:133]
	v_fma_f64 v[138:139], v[122:123], v[98:99], -v[120:121]
	v_fma_f64 v[140:141], v[142:143], v[92:93], v[104:105]
	v_fma_f64 v[156:157], v[142:143], v[94:95], -v[106:107]
	v_add_f64 v[106:107], v[118:119], v[220:221]
	v_add_f64 v[104:105], v[116:117], v[244:245]
	;; [unrolled: 1-line block ×4, first 2 shown]
	s_waitcnt vmcnt(8) lgkmcnt(21)
	v_mul_f64 v[100:101], v[136:137], v[90:91]
	v_mul_f64 v[102:103], v[136:137], v[88:89]
	v_fma_f64 v[136:137], v[122:123], v[96:97], v[108:109]
	s_waitcnt vmcnt(0) lgkmcnt(19)
	v_mul_f64 v[96:97], v[180:181], v[82:83]
	v_mul_f64 v[98:99], v[180:181], v[80:81]
	s_clause 0x3
	buffer_load_dword v180, off, s[60:63], 0 offset:1252
	buffer_load_dword v181, off, s[60:63], 0 offset:1256
	;; [unrolled: 1-line block ×4, first 2 shown]
	v_mul_f64 v[112:113], v[186:187], v[86:87]
	v_mul_f64 v[114:115], v[186:187], v[84:85]
	s_clause 0xb
	buffer_load_dword v142, off, s[60:63], 0 offset:1232
	buffer_load_dword v143, off, s[60:63], 0 offset:1236
	;; [unrolled: 1-line block ×12, first 2 shown]
	v_fma_f64 v[162:163], v[134:135], v[88:89], v[100:101]
	v_fma_f64 v[164:165], v[134:135], v[90:91], -v[102:103]
	v_fma_f64 v[202:203], v[178:179], v[80:81], v[96:97]
	v_fma_f64 v[200:201], v[178:179], v[82:83], -v[98:99]
	v_fma_f64 v[166:167], v[184:185], v[84:85], v[112:113]
	v_fma_f64 v[168:169], v[184:185], v[86:87], -v[114:115]
	s_waitcnt vmcnt(12) lgkmcnt(18)
	v_mul_f64 v[92:93], v[182:183], v[74:75]
	v_mul_f64 v[94:95], v[182:183], v[72:73]
	s_clause 0x1b
	buffer_load_dword v182, off, s[60:63], 0 offset:1304
	buffer_load_dword v183, off, s[60:63], 0 offset:1308
	;; [unrolled: 1-line block ×28, first 2 shown]
	s_waitcnt vmcnt(36) lgkmcnt(17)
	v_mul_f64 v[108:109], v[144:145], v[66:67]
	v_mul_f64 v[116:117], v[144:145], v[64:65]
	s_waitcnt vmcnt(32) lgkmcnt(15)
	v_mul_f64 v[88:89], v[192:193], v[78:79]
	v_mul_f64 v[90:91], v[192:193], v[76:77]
	;; [unrolled: 3-line block ×3, first 2 shown]
	s_clause 0x7
	buffer_load_dword v234, off, s[60:63], 0 offset:948
	buffer_load_dword v235, off, s[60:63], 0 offset:952
	;; [unrolled: 1-line block ×8, first 2 shown]
	v_fma_f64 v[178:179], v[180:181], v[72:73], v[92:93]
	v_fma_f64 v[174:175], v[180:181], v[74:75], -v[94:95]
	v_fma_f64 v[72:73], v[142:143], v[64:65], v[108:109]
	v_fma_f64 v[74:75], v[142:143], v[66:67], -v[116:117]
	;; [unrolled: 2-line block ×3, first 2 shown]
	v_fma_f64 v[108:109], v[186:187], v[70:71], -v[102:103]
	v_add_f64 v[70:71], v[106:107], v[160:161]
	v_add_f64 v[70:71], v[70:71], v[154:155]
	;; [unrolled: 1-line block ×3, first 2 shown]
	s_waitcnt vmcnt(32) lgkmcnt(13)
	v_mul_f64 v[84:85], v[184:185], v[62:63]
	v_mul_f64 v[86:87], v[184:185], v[60:61]
	s_waitcnt vmcnt(28) lgkmcnt(12)
	v_mul_f64 v[112:113], v[120:121], v[58:59]
	v_mul_f64 v[114:115], v[120:121], v[56:57]
	;; [unrolled: 3-line block ×5, first 2 shown]
	s_clause 0x3
	buffer_load_dword v226, off, s[60:63], 0 offset:916
	buffer_load_dword v227, off, s[60:63], 0 offset:920
	;; [unrolled: 1-line block ×4, first 2 shown]
	v_fma_f64 v[120:121], v[186:187], v[68:69], v[100:101]
	s_clause 0xf
	buffer_load_dword v188, off, s[60:63], 0 offset:1160
	buffer_load_dword v189, off, s[60:63], 0 offset:1164
	;; [unrolled: 1-line block ×16, first 2 shown]
	v_add_f64 v[68:69], v[104:105], v[158:159]
	v_mul_f64 v[94:95], v[214:215], v[18:19]
	v_mul_f64 v[122:123], v[214:215], v[16:17]
	v_mul_f64 v[126:127], v[210:211], v[22:23]
	v_mul_f64 v[134:135], v[210:211], v[20:21]
	s_waitcnt vmcnt(20) lgkmcnt(5)
	v_mul_f64 v[210:211], v[232:233], v[46:47]
	v_mul_f64 v[214:215], v[232:233], v[44:45]
	v_fma_f64 v[100:101], v[182:183], v[60:61], v[84:85]
	v_fma_f64 v[116:117], v[118:119], v[56:57], v[112:113]
	v_fma_f64 v[104:105], v[182:183], v[62:63], -v[86:87]
	v_fma_f64 v[102:103], v[224:225], v[8:9], v[80:81]
	v_add_f64 v[8:9], v[70:71], v[130:131]
	v_fma_f64 v[92:93], v[216:217], v[12:13], v[96:97]
	v_fma_f64 v[96:97], v[216:217], v[14:15], -v[98:99]
	v_fma_f64 v[112:113], v[224:225], v[10:11], -v[82:83]
	v_add_f64 v[10:11], v[132:133], -v[74:75]
	v_add_f64 v[12:13], v[132:133], v[74:75]
	v_mul_f64 v[222:223], v[236:237], v[34:35]
	v_mul_f64 v[246:247], v[236:237], v[32:33]
	v_fma_f64 v[118:119], v[118:119], v[58:59], -v[114:115]
	v_fma_f64 v[82:83], v[238:239], v[26:27], -v[250:251]
	v_add_f64 v[26:27], v[220:221], -v[174:175]
	v_add_f64 v[68:69], v[68:69], v[152:153]
	v_fma_f64 v[84:85], v[212:213], v[16:17], v[94:95]
	v_fma_f64 v[88:89], v[212:213], v[18:19], -v[122:123]
	v_fma_f64 v[76:77], v[208:209], v[20:21], v[126:127]
	v_fma_f64 v[80:81], v[208:209], v[22:23], -v[134:135]
	;; [unrolled: 2-line block ×3, first 2 shown]
	v_add_f64 v[16:17], v[248:249], v[72:73]
	v_add_f64 v[18:19], v[248:249], -v[72:73]
	v_add_f64 v[22:23], v[220:221], v[174:175]
	v_fma_f64 v[78:79], v[238:239], v[24:25], v[218:219]
	v_add_f64 v[8:9], v[8:9], v[124:125]
	v_add_f64 v[20:21], v[244:245], v[178:179]
	v_add_f64 v[24:25], v[244:245], -v[178:179]
	s_waitcnt vmcnt(0) lgkmcnt(0)
	s_waitcnt_vscnt null, 0x0
	v_mul_f64 v[44:45], v[10:11], s[42:43]
	v_mul_f64 v[46:47], v[12:13], s[12:13]
	;; [unrolled: 1-line block ×3, first 2 shown]
	v_fma_f64 v[86:87], v[234:235], v[32:33], v[222:223]
	v_fma_f64 v[90:91], v[234:235], v[34:35], -v[246:247]
	v_add_f64 v[32:33], v[170:171], -v[202:203]
	v_add_f64 v[34:35], v[176:177], -v[200:201]
	v_add_f64 v[68:69], v[68:69], v[172:173]
	v_mul_f64 v[220:221], v[26:27], s[22:23]
	s_barrier
	buffer_gl0_inv
	v_mul_f64 v[222:223], v[22:23], s[12:13]
	v_add_f64 v[8:9], v[8:9], v[150:151]
	v_fma_f64 v[212:213], v[16:17], s[12:13], v[44:45]
	v_fma_f64 v[214:215], v[18:19], s[22:23], v[46:47]
	v_fma_f64 v[44:45], v[16:17], s[12:13], -v[44:45]
	v_fma_f64 v[46:47], v[18:19], s[42:43], v[46:47]
	v_fma_f64 v[234:235], v[18:19], s[40:41], v[70:71]
	;; [unrolled: 1-line block ×3, first 2 shown]
	v_mul_f64 v[244:245], v[34:35], s[42:43]
	v_add_f64 v[56:57], v[68:69], v[128:129]
	v_mul_f64 v[68:69], v[10:11], s[24:25]
	v_add_f64 v[8:9], v[8:9], v[138:139]
	v_add_f64 v[212:213], v[4:5], v[212:213]
	;; [unrolled: 1-line block ×18, first 2 shown]
	v_mul_f64 v[232:233], v[228:229], v[54:55]
	v_mul_f64 v[228:229], v[228:229], v[52:53]
	;; [unrolled: 1-line block ×12, first 2 shown]
	v_fma_f64 v[106:107], v[226:227], v[52:53], v[232:233]
	v_fma_f64 v[114:115], v[226:227], v[54:55], -v[228:229]
	v_fma_f64 v[122:123], v[188:189], v[48:49], v[192:193]
	v_fma_f64 v[126:127], v[188:189], v[50:51], -v[194:195]
	;; [unrolled: 2-line block ×5, first 2 shown]
	v_mul_f64 v[36:37], v[10:11], s[46:47]
	v_mul_f64 v[38:39], v[12:13], s[0:1]
	v_mul_f64 v[40:41], v[10:11], s[44:45]
	v_mul_f64 v[42:43], v[12:13], s[36:37]
	v_mul_f64 v[48:49], v[10:11], s[38:39]
	v_mul_f64 v[50:51], v[12:13], s[26:27]
	v_mul_f64 v[52:53], v[10:11], s[34:35]
	v_mul_f64 v[54:55], v[12:13], s[18:19]
	v_mul_f64 v[60:61], v[10:11], s[28:29]
	v_mul_f64 v[62:63], v[12:13], s[16:17]
	v_mul_f64 v[10:11], v[10:11], s[20:21]
	v_mul_f64 v[12:13], v[12:13], s[2:3]
	v_add_f64 v[28:29], v[170:171], v[202:203]
	v_add_f64 v[30:31], v[176:177], v[200:201]
	v_mul_f64 v[170:171], v[26:27], s[44:45]
	v_mul_f64 v[176:177], v[22:23], s[36:37]
	;; [unrolled: 1-line block ×4, first 2 shown]
	v_fma_f64 v[232:233], v[16:17], s[6:7], v[68:69]
	v_fma_f64 v[68:69], v[16:17], s[6:7], -v[68:69]
	v_mul_f64 v[184:185], v[26:27], s[28:29]
	v_mul_f64 v[188:189], v[26:27], s[20:21]
	v_fma_f64 v[246:247], v[16:17], s[0:1], v[36:37]
	v_fma_f64 v[248:249], v[18:19], s[14:15], v[38:39]
	v_fma_f64 v[36:37], v[16:17], s[0:1], -v[36:37]
	v_fma_f64 v[38:39], v[18:19], s[46:47], v[38:39]
	v_fma_f64 v[208:209], v[16:17], s[36:37], v[40:41]
	v_fma_f64 v[210:211], v[18:19], s[48:49], v[42:43]
	v_fma_f64 v[40:41], v[16:17], s[36:37], -v[40:41]
	v_fma_f64 v[42:43], v[18:19], s[44:45], v[42:43]
	;; [unrolled: 4-line block ×6, first 2 shown]
	v_mul_f64 v[192:193], v[26:27], s[40:41]
	v_mul_f64 v[194:195], v[22:23], s[6:7]
	;; [unrolled: 1-line block ×4, first 2 shown]
	v_fma_f64 v[16:17], v[20:21], s[36:37], v[170:171]
	v_fma_f64 v[18:19], v[24:25], s[48:49], v[176:177]
	v_fma_f64 v[170:171], v[20:21], s[36:37], -v[170:171]
	v_fma_f64 v[176:177], v[24:25], s[44:45], v[176:177]
	v_fma_f64 v[240:241], v[20:21], s[26:27], v[180:181]
	v_add_f64 v[242:243], v[4:5], v[246:247]
	v_add_f64 v[246:247], v[6:7], v[248:249]
	;; [unrolled: 1-line block ×26, first 2 shown]
	v_fma_f64 v[4:5], v[24:25], s[54:55], v[182:183]
	v_add_f64 v[6:7], v[14:15], v[202:203]
	v_fma_f64 v[180:181], v[20:21], s[26:27], -v[180:181]
	v_fma_f64 v[182:183], v[24:25], s[38:39], v[182:183]
	v_mul_f64 v[26:27], v[26:27], s[14:15]
	v_mul_f64 v[22:23], v[22:23], s[0:1]
	;; [unrolled: 1-line block ×3, first 2 shown]
	v_add_f64 v[16:17], v[16:17], v[242:243]
	v_fma_f64 v[202:203], v[20:21], s[16:17], v[184:185]
	v_fma_f64 v[242:243], v[24:25], s[50:51], v[186:187]
	;; [unrolled: 1-line block ×3, first 2 shown]
	v_add_f64 v[36:37], v[170:171], v[36:37]
	v_fma_f64 v[170:171], v[20:21], s[2:3], v[188:189]
	v_add_f64 v[38:39], v[176:177], v[38:39]
	v_fma_f64 v[176:177], v[24:25], s[52:53], v[190:191]
	v_fma_f64 v[188:189], v[20:21], s[2:3], -v[188:189]
	v_fma_f64 v[190:191], v[24:25], s[20:21], v[190:191]
	v_add_f64 v[208:209], v[240:241], v[208:209]
	v_fma_f64 v[240:241], v[20:21], s[6:7], v[192:193]
	v_fma_f64 v[192:193], v[20:21], s[6:7], -v[192:193]
	v_fma_f64 v[174:175], v[24:25], s[34:35], v[198:199]
	v_mul_f64 v[14:15], v[34:35], s[28:29]
	v_add_f64 v[210:211], v[4:5], v[210:211]
	v_fma_f64 v[4:5], v[24:25], s[24:25], v[194:195]
	v_add_f64 v[6:7], v[6:7], v[178:179]
	v_fma_f64 v[178:179], v[20:21], s[18:19], v[196:197]
	;; [unrolled: 2-line block ×4, first 2 shown]
	v_mul_f64 v[200:201], v[30:31], s[16:17]
	v_add_f64 v[18:19], v[18:19], v[246:247]
	v_fma_f64 v[184:185], v[20:21], s[16:17], -v[184:185]
	v_fma_f64 v[194:195], v[24:25], s[40:41], v[194:195]
	v_fma_f64 v[196:197], v[20:21], s[18:19], -v[196:197]
	v_fma_f64 v[198:199], v[24:25], s[30:31], v[198:199]
	;; [unrolled: 2-line block ×3, first 2 shown]
	v_add_f64 v[202:203], v[202:203], v[212:213]
	v_fma_f64 v[212:213], v[20:21], s[0:1], v[26:27]
	v_add_f64 v[214:215], v[242:243], v[214:215]
	v_fma_f64 v[242:243], v[24:25], s[46:47], v[22:23]
	v_add_f64 v[46:47], v[186:187], v[46:47]
	v_add_f64 v[48:49], v[188:189], v[48:49]
	;; [unrolled: 1-line block ×9, first 2 shown]
	v_fma_f64 v[20:21], v[20:21], s[0:1], -v[26:27]
	v_fma_f64 v[22:23], v[24:25], s[14:15], v[22:23]
	v_mul_f64 v[24:25], v[34:35], s[52:53]
	v_mul_f64 v[26:27], v[30:31], s[2:3]
	v_fma_f64 v[74:75], v[28:29], s[12:13], v[244:245]
	v_fma_f64 v[174:175], v[32:33], s[22:23], v[248:249]
	v_add_f64 v[178:179], v[180:181], v[232:233]
	v_add_f64 v[180:181], v[182:183], v[234:235]
	v_fma_f64 v[182:183], v[28:29], s[12:13], -v[244:245]
	v_fma_f64 v[188:189], v[32:33], s[42:43], v[248:249]
	v_mul_f64 v[190:191], v[34:35], s[30:31]
	v_mul_f64 v[192:193], v[30:31], s[18:19]
	v_add_f64 v[44:45], v[184:185], v[44:45]
	v_add_f64 v[170:171], v[170:171], v[216:217]
	;; [unrolled: 1-line block ×5, first 2 shown]
	v_fma_f64 v[194:195], v[28:29], s[16:17], v[14:15]
	v_fma_f64 v[196:197], v[32:33], s[50:51], v[200:201]
	v_fma_f64 v[14:15], v[28:29], s[16:17], -v[14:15]
	v_fma_f64 v[200:201], v[32:33], s[28:29], v[200:201]
	v_mul_f64 v[216:217], v[34:35], s[48:49]
	v_add_f64 v[10:11], v[20:21], v[10:11]
	v_add_f64 v[12:13], v[22:23], v[12:13]
	v_fma_f64 v[20:21], v[28:29], s[2:3], v[24:25]
	v_fma_f64 v[22:23], v[32:33], s[20:21], v[26:27]
	v_mul_f64 v[218:219], v[30:31], s[36:37]
	v_add_f64 v[16:17], v[74:75], v[16:17]
	v_add_f64 v[18:19], v[174:175], v[18:19]
	v_fma_f64 v[24:25], v[28:29], s[2:3], -v[24:25]
	v_fma_f64 v[26:27], v[32:33], s[52:53], v[26:27]
	v_add_f64 v[36:37], v[182:183], v[36:37]
	v_add_f64 v[38:39], v[188:189], v[38:39]
	v_fma_f64 v[74:75], v[28:29], s[18:19], v[190:191]
	v_fma_f64 v[174:175], v[32:33], s[34:35], v[192:193]
	v_mul_f64 v[182:183], v[34:35], s[46:47]
	v_mul_f64 v[188:189], v[30:31], s[0:1]
	v_add_f64 v[184:185], v[240:241], v[224:225]
	v_fma_f64 v[190:191], v[28:29], s[18:19], -v[190:191]
	v_add_f64 v[194:195], v[194:195], v[208:209]
	v_fma_f64 v[192:193], v[32:33], s[30:31], v[192:193]
	v_add_f64 v[14:15], v[14:15], v[40:41]
	v_add_f64 v[40:41], v[200:201], v[42:43]
	v_add_f64 v[42:43], v[160:161], -v[168:169]
	v_add_f64 v[160:161], v[160:161], v[168:169]
	v_fma_f64 v[168:169], v[28:29], s[36:37], v[216:217]
	v_add_f64 v[20:21], v[20:21], v[202:203]
	v_mul_f64 v[202:203], v[34:35], s[38:39]
	v_fma_f64 v[200:201], v[32:33], s[44:45], v[218:219]
	v_mul_f64 v[208:209], v[30:31], s[26:27]
	v_mul_f64 v[34:35], v[34:35], s[24:25]
	v_add_f64 v[24:25], v[24:25], v[44:45]
	v_add_f64 v[26:27], v[26:27], v[46:47]
	v_fma_f64 v[44:45], v[28:29], s[36:37], -v[216:217]
	v_fma_f64 v[46:47], v[32:33], s[48:49], v[218:219]
	v_add_f64 v[74:75], v[74:75], v[170:171]
	v_add_f64 v[170:171], v[174:175], v[176:177]
	v_fma_f64 v[174:175], v[28:29], s[0:1], v[182:183]
	v_fma_f64 v[176:177], v[32:33], s[14:15], v[188:189]
	v_mul_f64 v[30:31], v[30:31], s[6:7]
	v_add_f64 v[62:63], v[198:199], v[62:63]
	v_add_f64 v[68:69], v[220:221], v[68:69]
	;; [unrolled: 1-line block ×8, first 2 shown]
	v_add_f64 v[158:159], v[158:159], -v[166:167]
	v_mul_f64 v[166:167], v[42:43], s[38:39]
	v_mul_f64 v[192:193], v[160:161], s[26:27]
	v_fma_f64 v[182:183], v[28:29], s[0:1], -v[182:183]
	v_fma_f64 v[188:189], v[32:33], s[46:47], v[188:189]
	v_add_f64 v[168:169], v[168:169], v[184:185]
	v_add_f64 v[184:185], v[200:201], v[186:187]
	v_fma_f64 v[186:187], v[28:29], s[26:27], v[202:203]
	v_fma_f64 v[200:201], v[32:33], s[54:55], v[208:209]
	v_mul_f64 v[210:211], v[42:43], s[20:21]
	v_mul_f64 v[214:215], v[160:161], s[2:3]
	v_add_f64 v[44:45], v[44:45], v[52:53]
	v_add_f64 v[46:47], v[46:47], v[54:55]
	v_fma_f64 v[52:53], v[28:29], s[26:27], -v[202:203]
	v_fma_f64 v[54:55], v[32:33], s[38:39], v[208:209]
	v_add_f64 v[8:9], v[174:175], v[8:9]
	v_add_f64 v[72:73], v[176:177], v[72:73]
	v_fma_f64 v[174:175], v[28:29], s[6:7], v[34:35]
	v_fma_f64 v[176:177], v[32:33], s[40:41], v[30:31]
	v_fma_f64 v[28:29], v[28:29], s[6:7], -v[34:35]
	v_fma_f64 v[30:31], v[32:33], s[24:25], v[30:31]
	v_mul_f64 v[32:33], v[42:43], s[30:31]
	v_mul_f64 v[34:35], v[160:161], s[18:19]
	v_add_f64 v[198:199], v[212:213], v[236:237]
	v_fma_f64 v[202:203], v[190:191], s[26:27], v[166:167]
	v_fma_f64 v[208:209], v[158:159], s[54:55], v[192:193]
	v_add_f64 v[60:61], v[182:183], v[60:61]
	v_add_f64 v[62:63], v[188:189], v[62:63]
	v_fma_f64 v[166:167], v[190:191], s[26:27], -v[166:167]
	v_fma_f64 v[182:183], v[158:159], s[38:39], v[192:193]
	v_add_f64 v[178:179], v[186:187], v[178:179]
	v_add_f64 v[180:181], v[200:201], v[180:181]
	v_fma_f64 v[186:187], v[190:191], s[2:3], v[210:211]
	v_fma_f64 v[188:189], v[158:159], s[52:53], v[214:215]
	v_mul_f64 v[192:193], v[42:43], s[14:15]
	v_mul_f64 v[200:201], v[160:161], s[0:1]
	v_add_f64 v[52:53], v[52:53], v[68:69]
	v_add_f64 v[54:55], v[54:55], v[70:71]
	v_fma_f64 v[68:69], v[190:191], s[2:3], -v[210:211]
	v_fma_f64 v[70:71], v[158:159], s[20:21], v[214:215]
	v_add_f64 v[212:213], v[242:243], v[238:239]
	v_add_f64 v[10:11], v[28:29], v[10:11]
	;; [unrolled: 1-line block ×3, first 2 shown]
	v_fma_f64 v[28:29], v[190:191], s[18:19], v[32:33]
	v_fma_f64 v[30:31], v[158:159], s[34:35], v[34:35]
	v_add_f64 v[174:175], v[174:175], v[198:199]
	v_add_f64 v[16:17], v[202:203], v[16:17]
	v_mul_f64 v[198:199], v[42:43], s[42:43]
	v_mul_f64 v[202:203], v[160:161], s[12:13]
	v_fma_f64 v[32:33], v[190:191], s[18:19], -v[32:33]
	v_add_f64 v[36:37], v[166:167], v[36:37]
	v_add_f64 v[38:39], v[182:183], v[38:39]
	v_fma_f64 v[34:35], v[158:159], s[30:31], v[34:35]
	v_add_f64 v[18:19], v[208:209], v[18:19]
	v_add_f64 v[166:167], v[186:187], v[194:195]
	;; [unrolled: 1-line block ×3, first 2 shown]
	v_fma_f64 v[186:187], v[190:191], s[0:1], v[192:193]
	v_fma_f64 v[188:189], v[158:159], s[46:47], v[200:201]
	v_mul_f64 v[194:195], v[42:43], s[24:25]
	v_mul_f64 v[196:197], v[160:161], s[6:7]
	v_add_f64 v[14:15], v[68:69], v[14:15]
	v_add_f64 v[40:41], v[70:71], v[40:41]
	v_fma_f64 v[68:69], v[190:191], s[0:1], -v[192:193]
	v_fma_f64 v[70:71], v[158:159], s[14:15], v[200:201]
	v_mul_f64 v[192:193], v[42:43], s[50:51]
	v_mul_f64 v[200:201], v[160:161], s[16:17]
	v_add_f64 v[20:21], v[28:29], v[20:21]
	v_add_f64 v[22:23], v[30:31], v[22:23]
	v_add_f64 v[28:29], v[154:155], -v[164:165]
	v_add_f64 v[30:31], v[154:155], v[164:165]
	v_fma_f64 v[154:155], v[190:191], s[12:13], v[198:199]
	v_fma_f64 v[164:165], v[158:159], s[22:23], v[202:203]
	v_fma_f64 v[198:199], v[190:191], s[12:13], -v[198:199]
	v_fma_f64 v[202:203], v[158:159], s[42:43], v[202:203]
	v_add_f64 v[24:25], v[32:33], v[24:25]
	v_add_f64 v[26:27], v[34:35], v[26:27]
	v_mul_f64 v[32:33], v[42:43], s[48:49]
	v_mul_f64 v[34:35], v[160:161], s[36:37]
	v_add_f64 v[42:43], v[186:187], v[74:75]
	v_add_f64 v[74:75], v[188:189], v[170:171]
	v_fma_f64 v[160:161], v[190:191], s[6:7], v[194:195]
	v_fma_f64 v[170:171], v[158:159], s[40:41], v[196:197]
	v_fma_f64 v[186:187], v[190:191], s[6:7], -v[194:195]
	v_fma_f64 v[188:189], v[158:159], s[24:25], v[196:197]
	v_add_f64 v[48:49], v[68:69], v[48:49]
	v_add_f64 v[50:51], v[70:71], v[50:51]
	v_fma_f64 v[68:69], v[190:191], s[16:17], v[192:193]
	v_fma_f64 v[70:71], v[158:159], s[28:29], v[200:201]
	v_add_f64 v[194:195], v[152:153], v[162:163]
	v_add_f64 v[152:153], v[152:153], -v[162:163]
	v_mul_f64 v[162:163], v[28:29], s[34:35]
	v_mul_f64 v[196:197], v[30:31], s[18:19]
	v_add_f64 v[176:177], v[176:177], v[212:213]
	v_add_f64 v[154:155], v[154:155], v[168:169]
	;; [unrolled: 1-line block ×5, first 2 shown]
	v_fma_f64 v[168:169], v[190:191], s[16:17], -v[192:193]
	v_fma_f64 v[184:185], v[158:159], s[50:51], v[200:201]
	v_fma_f64 v[192:193], v[190:191], s[36:37], v[32:33]
	v_fma_f64 v[198:199], v[158:159], s[44:45], v[34:35]
	v_mul_f64 v[200:201], v[28:29], s[40:41]
	v_mul_f64 v[202:203], v[30:31], s[6:7]
	v_add_f64 v[8:9], v[160:161], v[8:9]
	v_add_f64 v[72:73], v[170:171], v[72:73]
	v_add_f64 v[60:61], v[186:187], v[60:61]
	v_mul_f64 v[160:161], v[28:29], s[48:49]
	v_mul_f64 v[170:171], v[30:31], s[36:37]
	v_fma_f64 v[32:33], v[190:191], s[36:37], -v[32:33]
	v_fma_f64 v[34:35], v[158:159], s[48:49], v[34:35]
	v_add_f64 v[68:69], v[68:69], v[178:179]
	v_add_f64 v[70:71], v[70:71], v[180:181]
	v_fma_f64 v[158:159], v[194:195], s[18:19], v[162:163]
	v_fma_f64 v[178:179], v[152:153], s[30:31], v[196:197]
	v_mul_f64 v[180:181], v[28:29], s[42:43]
	v_mul_f64 v[186:187], v[30:31], s[12:13]
	v_fma_f64 v[162:163], v[194:195], s[18:19], -v[162:163]
	v_add_f64 v[62:63], v[188:189], v[62:63]
	v_fma_f64 v[188:189], v[152:153], s[34:35], v[196:197]
	v_add_f64 v[52:53], v[168:169], v[52:53]
	v_add_f64 v[54:55], v[184:185], v[54:55]
	;; [unrolled: 1-line block ×4, first 2 shown]
	v_fma_f64 v[176:177], v[194:195], s[6:7], v[200:201]
	v_fma_f64 v[184:185], v[152:153], s[24:25], v[202:203]
	v_fma_f64 v[190:191], v[194:195], s[6:7], -v[200:201]
	v_fma_f64 v[192:193], v[152:153], s[40:41], v[202:203]
	v_mul_f64 v[196:197], v[28:29], s[20:21]
	v_fma_f64 v[200:201], v[194:195], s[36:37], v[160:161]
	v_fma_f64 v[202:203], v[152:153], s[44:45], v[170:171]
	v_add_f64 v[10:11], v[32:33], v[10:11]
	v_add_f64 v[12:13], v[34:35], v[12:13]
	v_fma_f64 v[32:33], v[194:195], s[36:37], -v[160:161]
	v_fma_f64 v[34:35], v[152:153], s[48:49], v[170:171]
	v_add_f64 v[16:17], v[158:159], v[16:17]
	v_add_f64 v[18:19], v[178:179], v[18:19]
	v_fma_f64 v[158:159], v[194:195], s[12:13], v[180:181]
	v_fma_f64 v[160:161], v[152:153], s[22:23], v[186:187]
	v_add_f64 v[36:37], v[162:163], v[36:37]
	v_mul_f64 v[162:163], v[28:29], s[54:55]
	v_mul_f64 v[170:171], v[30:31], s[26:27]
	v_fma_f64 v[178:179], v[194:195], s[12:13], -v[180:181]
	v_fma_f64 v[180:181], v[152:153], s[42:43], v[186:187]
	v_mul_f64 v[198:199], v[30:31], s[2:3]
	v_add_f64 v[38:39], v[188:189], v[38:39]
	v_add_f64 v[166:167], v[176:177], v[166:167]
	;; [unrolled: 1-line block ×3, first 2 shown]
	v_mul_f64 v[186:187], v[28:29], s[46:47]
	v_mul_f64 v[188:189], v[30:31], s[0:1]
	v_fma_f64 v[182:183], v[194:195], s[2:3], v[196:197]
	v_mul_f64 v[28:29], v[28:29], s[28:29]
	v_mul_f64 v[30:31], v[30:31], s[16:17]
	v_add_f64 v[14:15], v[190:191], v[14:15]
	v_add_f64 v[40:41], v[192:193], v[40:41]
	v_add_f64 v[24:25], v[32:33], v[24:25]
	v_add_f64 v[26:27], v[34:35], v[26:27]
	v_add_f64 v[32:33], v[146:147], -v[156:157]
	v_add_f64 v[34:35], v[146:147], v[156:157]
	v_add_f64 v[42:43], v[158:159], v[42:43]
	;; [unrolled: 1-line block ×3, first 2 shown]
	v_fma_f64 v[146:147], v[194:195], s[2:3], -v[196:197]
	v_fma_f64 v[158:159], v[194:195], s[26:27], v[162:163]
	v_fma_f64 v[160:161], v[152:153], s[38:39], v[170:171]
	v_add_f64 v[48:49], v[178:179], v[48:49]
	v_add_f64 v[50:51], v[180:181], v[50:51]
	;; [unrolled: 1-line block ×4, first 2 shown]
	v_fma_f64 v[184:185], v[152:153], s[52:53], v[198:199]
	v_fma_f64 v[156:157], v[152:153], s[20:21], v[198:199]
	v_fma_f64 v[162:163], v[194:195], s[26:27], -v[162:163]
	v_fma_f64 v[170:171], v[152:153], s[54:55], v[170:171]
	v_add_f64 v[154:155], v[182:183], v[154:155]
	v_fma_f64 v[182:183], v[194:195], s[0:1], v[186:187]
	v_add_f64 v[190:191], v[172:173], v[140:141]
	v_add_f64 v[140:141], v[172:173], -v[140:141]
	v_fma_f64 v[186:187], v[194:195], s[0:1], -v[186:187]
	v_add_f64 v[20:21], v[200:201], v[20:21]
	v_add_f64 v[22:23], v[202:203], v[22:23]
	v_mul_f64 v[172:173], v[32:33], s[28:29]
	v_mul_f64 v[192:193], v[34:35], s[16:17]
	v_add_f64 v[44:45], v[146:147], v[44:45]
	v_add_f64 v[8:9], v[158:159], v[8:9]
	;; [unrolled: 1-line block ×3, first 2 shown]
	v_mul_f64 v[146:147], v[32:33], s[30:31]
	v_add_f64 v[158:159], v[178:179], v[120:121]
	v_add_f64 v[160:161], v[180:181], v[108:109]
	;; [unrolled: 1-line block ×3, first 2 shown]
	v_fma_f64 v[184:185], v[152:153], s[14:15], v[188:189]
	v_fma_f64 v[188:189], v[152:153], s[46:47], v[188:189]
	v_add_f64 v[46:47], v[156:157], v[46:47]
	v_mul_f64 v[156:157], v[34:35], s[18:19]
	v_fma_f64 v[178:179], v[194:195], s[16:17], v[28:29]
	v_fma_f64 v[180:181], v[152:153], s[50:51], v[30:31]
	v_fma_f64 v[28:29], v[194:195], s[16:17], -v[28:29]
	v_fma_f64 v[30:31], v[152:153], s[28:29], v[30:31]
	v_mul_f64 v[152:153], v[32:33], s[46:47]
	v_add_f64 v[60:61], v[162:163], v[60:61]
	v_add_f64 v[68:69], v[182:183], v[68:69]
	v_mul_f64 v[162:163], v[34:35], s[0:1]
	v_fma_f64 v[182:183], v[140:141], s[50:51], v[192:193]
	v_add_f64 v[62:63], v[170:171], v[62:63]
	v_fma_f64 v[170:171], v[190:191], s[16:17], v[172:173]
	v_add_f64 v[52:53], v[186:187], v[52:53]
	v_fma_f64 v[172:173], v[190:191], s[16:17], -v[172:173]
	v_mul_f64 v[186:187], v[32:33], s[24:25]
	v_add_f64 v[158:159], v[158:159], v[100:101]
	v_add_f64 v[160:161], v[160:161], v[104:105]
	v_add_f64 v[70:71], v[184:185], v[70:71]
	v_fma_f64 v[184:185], v[140:141], s[28:29], v[192:193]
	v_fma_f64 v[192:193], v[190:191], s[18:19], v[146:147]
	;; [unrolled: 1-line block ×3, first 2 shown]
	v_add_f64 v[168:169], v[178:179], v[168:169]
	v_add_f64 v[54:55], v[188:189], v[54:55]
	;; [unrolled: 1-line block ×4, first 2 shown]
	v_fma_f64 v[28:29], v[190:191], s[18:19], -v[146:147]
	v_fma_f64 v[30:31], v[140:141], s[30:31], v[156:157]
	v_mul_f64 v[146:147], v[32:33], s[54:55]
	v_mul_f64 v[156:157], v[34:35], s[26:27]
	v_fma_f64 v[178:179], v[190:191], s[0:1], v[152:153]
	v_fma_f64 v[152:153], v[190:191], s[0:1], -v[152:153]
	v_mul_f64 v[188:189], v[34:35], s[6:7]
	v_add_f64 v[174:175], v[180:181], v[174:175]
	v_fma_f64 v[180:181], v[140:141], s[14:15], v[162:163]
	v_add_f64 v[18:19], v[182:183], v[18:19]
	v_fma_f64 v[162:163], v[140:141], s[46:47], v[162:163]
	v_add_f64 v[158:159], v[158:159], v[116:117]
	v_add_f64 v[160:161], v[160:161], v[118:119]
	v_mul_f64 v[182:183], v[32:33], s[44:45]
	v_add_f64 v[16:17], v[170:171], v[16:17]
	v_add_f64 v[38:39], v[184:185], v[38:39]
	v_mul_f64 v[184:185], v[34:35], s[36:37]
	v_add_f64 v[36:37], v[172:173], v[36:37]
	v_fma_f64 v[170:171], v[190:191], s[6:7], v[186:187]
	v_fma_f64 v[186:187], v[190:191], s[6:7], -v[186:187]
	v_add_f64 v[166:167], v[192:193], v[166:167]
	v_add_f64 v[176:177], v[194:195], v[176:177]
	;; [unrolled: 1-line block ×4, first 2 shown]
	v_fma_f64 v[30:31], v[190:191], s[26:27], v[146:147]
	v_fma_f64 v[40:41], v[140:141], s[38:39], v[156:157]
	v_add_f64 v[20:21], v[178:179], v[20:21]
	v_add_f64 v[24:25], v[152:153], v[24:25]
	v_add_f64 v[152:153], v[130:131], -v[138:139]
	v_add_f64 v[130:131], v[130:131], v[138:139]
	v_fma_f64 v[138:139], v[190:191], s[26:27], -v[146:147]
	v_fma_f64 v[146:147], v[140:141], s[54:55], v[156:157]
	v_fma_f64 v[172:173], v[140:141], s[40:41], v[188:189]
	v_add_f64 v[156:157], v[158:159], v[102:103]
	v_add_f64 v[158:159], v[160:161], v[112:113]
	;; [unrolled: 1-line block ×3, first 2 shown]
	v_mul_f64 v[178:179], v[32:33], s[20:21]
	v_mul_f64 v[180:181], v[34:35], s[2:3]
	v_add_f64 v[26:27], v[162:163], v[26:27]
	v_fma_f64 v[160:161], v[190:191], s[36:37], v[182:183]
	v_fma_f64 v[162:163], v[140:141], s[48:49], v[184:185]
	v_mul_f64 v[32:33], v[32:33], s[22:23]
	v_mul_f64 v[34:35], v[34:35], s[12:13]
	v_fma_f64 v[188:189], v[140:141], s[24:25], v[188:189]
	v_add_f64 v[42:43], v[170:171], v[42:43]
	v_add_f64 v[48:49], v[186:187], v[48:49]
	;; [unrolled: 1-line block ×4, first 2 shown]
	v_fma_f64 v[154:155], v[190:191], s[36:37], -v[182:183]
	v_fma_f64 v[164:165], v[140:141], s[44:45], v[184:185]
	v_add_f64 v[182:183], v[128:129], v[136:137]
	v_add_f64 v[128:129], v[128:129], -v[136:137]
	v_mul_f64 v[136:137], v[152:153], s[24:25]
	v_add_f64 v[44:45], v[138:139], v[44:45]
	v_add_f64 v[46:47], v[146:147], v[46:47]
	;; [unrolled: 1-line block ×5, first 2 shown]
	v_fma_f64 v[170:171], v[190:191], s[2:3], v[178:179]
	v_fma_f64 v[172:173], v[140:141], s[52:53], v[180:181]
	v_mul_f64 v[184:185], v[130:131], s[6:7]
	v_fma_f64 v[178:179], v[190:191], s[2:3], -v[178:179]
	v_fma_f64 v[180:181], v[140:141], s[20:21], v[180:181]
	v_add_f64 v[8:9], v[160:161], v[8:9]
	v_add_f64 v[72:73], v[162:163], v[72:73]
	v_mul_f64 v[156:157], v[152:153], s[22:23]
	v_mul_f64 v[158:159], v[130:131], s[12:13]
	v_fma_f64 v[160:161], v[190:191], s[12:13], v[32:33]
	v_fma_f64 v[162:163], v[140:141], s[42:43], v[34:35]
	v_fma_f64 v[32:33], v[190:191], s[12:13], -v[32:33]
	v_fma_f64 v[34:35], v[140:141], s[22:23], v[34:35]
	v_add_f64 v[60:61], v[154:155], v[60:61]
	v_add_f64 v[62:63], v[164:165], v[62:63]
	v_mul_f64 v[140:141], v[152:153], s[38:39]
	v_mul_f64 v[154:155], v[130:131], s[26:27]
	v_fma_f64 v[164:165], v[182:183], s[6:7], v[136:137]
	v_fma_f64 v[136:137], v[182:183], s[6:7], -v[136:137]
	v_add_f64 v[138:139], v[138:139], v[84:85]
	v_add_f64 v[146:147], v[146:147], v[88:89]
	;; [unrolled: 1-line block ×5, first 2 shown]
	v_fma_f64 v[170:171], v[128:129], s[40:41], v[184:185]
	v_add_f64 v[52:53], v[178:179], v[52:53]
	v_add_f64 v[54:55], v[180:181], v[54:55]
	v_fma_f64 v[172:173], v[128:129], s[24:25], v[184:185]
	v_mul_f64 v[178:179], v[152:153], s[50:51]
	v_mul_f64 v[180:181], v[130:131], s[16:17]
	v_fma_f64 v[184:185], v[182:183], s[12:13], v[156:157]
	v_fma_f64 v[186:187], v[128:129], s[42:43], v[158:159]
	v_add_f64 v[160:161], v[160:161], v[168:169]
	v_add_f64 v[162:163], v[162:163], v[174:175]
	;; [unrolled: 1-line block ×4, first 2 shown]
	v_fma_f64 v[32:33], v[182:183], s[12:13], -v[156:157]
	v_fma_f64 v[34:35], v[128:129], s[22:23], v[158:159]
	v_mul_f64 v[156:157], v[152:153], s[46:47]
	v_mul_f64 v[158:159], v[130:131], s[0:1]
	v_fma_f64 v[168:169], v[182:183], s[26:27], v[140:141]
	v_fma_f64 v[174:175], v[128:129], s[54:55], v[154:155]
	v_fma_f64 v[140:141], v[182:183], s[26:27], -v[140:141]
	v_fma_f64 v[154:155], v[128:129], s[38:39], v[154:155]
	v_add_f64 v[36:37], v[136:137], v[36:37]
	v_add_f64 v[136:137], v[138:139], v[76:77]
	;; [unrolled: 1-line block ×6, first 2 shown]
	v_fma_f64 v[146:147], v[182:183], s[16:17], v[178:179]
	v_fma_f64 v[164:165], v[128:129], s[28:29], v[180:181]
	v_add_f64 v[166:167], v[184:185], v[166:167]
	v_add_f64 v[170:171], v[186:187], v[176:177]
	v_fma_f64 v[172:173], v[182:183], s[16:17], -v[178:179]
	v_fma_f64 v[176:177], v[128:129], s[50:51], v[180:181]
	v_mul_f64 v[178:179], v[152:153], s[20:21]
	v_mul_f64 v[180:181], v[130:131], s[2:3]
	v_add_f64 v[14:15], v[32:33], v[14:15]
	v_add_f64 v[32:33], v[34:35], v[28:29]
	v_fma_f64 v[28:29], v[182:183], s[0:1], v[156:157]
	v_fma_f64 v[34:35], v[128:129], s[14:15], v[158:159]
	v_add_f64 v[20:21], v[168:169], v[20:21]
	v_add_f64 v[22:23], v[174:175], v[22:23]
	v_mul_f64 v[168:169], v[152:153], s[48:49]
	v_mul_f64 v[174:175], v[130:131], s[36:37]
	v_add_f64 v[140:141], v[140:141], v[24:25]
	v_add_f64 v[154:155], v[154:155], v[26:27]
	v_add_f64 v[184:185], v[124:125], -v[150:151]
	v_add_f64 v[124:125], v[124:125], v[150:151]
	v_add_f64 v[24:25], v[136:137], v[78:79]
	;; [unrolled: 1-line block ×3, first 2 shown]
	v_fma_f64 v[136:137], v[182:183], s[0:1], -v[156:157]
	v_add_f64 v[74:75], v[164:165], v[74:75]
	v_fma_f64 v[138:139], v[128:129], s[46:47], v[158:159]
	v_mul_f64 v[130:131], v[130:131], s[18:19]
	v_add_f64 v[48:49], v[172:173], v[48:49]
	v_add_f64 v[164:165], v[110:111], v[148:149]
	v_add_f64 v[110:111], v[110:111], -v[148:149]
	v_fma_f64 v[150:151], v[128:129], s[52:53], v[180:181]
	v_add_f64 v[42:43], v[146:147], v[42:43]
	v_add_f64 v[50:51], v[176:177], v[50:51]
	;; [unrolled: 1-line block ×4, first 2 shown]
	v_fma_f64 v[28:29], v[182:183], s[2:3], -v[178:179]
	v_fma_f64 v[30:31], v[128:129], s[20:21], v[180:181]
	v_fma_f64 v[34:35], v[182:183], s[36:37], v[168:169]
	;; [unrolled: 1-line block ×4, first 2 shown]
	v_mul_f64 v[152:153], v[152:153], s[34:35]
	v_mul_f64 v[148:149], v[184:185], s[20:21]
	;; [unrolled: 1-line block ×3, first 2 shown]
	v_add_f64 v[24:25], v[24:25], v[86:87]
	v_add_f64 v[26:27], v[26:27], v[90:91]
	v_fma_f64 v[168:169], v[182:183], s[36:37], -v[168:169]
	v_fma_f64 v[174:175], v[128:129], s[48:49], v[174:175]
	v_add_f64 v[136:137], v[136:137], v[44:45]
	v_add_f64 v[138:139], v[138:139], v[46:47]
	v_mul_f64 v[44:45], v[184:185], s[14:15]
	v_mul_f64 v[46:47], v[124:125], s[0:1]
	;; [unrolled: 1-line block ×3, first 2 shown]
	v_add_f64 v[72:73], v[150:151], v[72:73]
	v_fma_f64 v[150:151], v[128:129], s[30:31], v[130:131]
	v_fma_f64 v[128:129], v[128:129], s[34:35], v[130:131]
	v_mul_f64 v[180:181], v[124:125], s[36:37]
	v_add_f64 v[192:193], v[120:121], v[142:143]
	v_add_f64 v[60:61], v[28:29], v[60:61]
	;; [unrolled: 1-line block ×5, first 2 shown]
	v_mul_f64 v[28:29], v[184:185], s[24:25]
	v_mul_f64 v[30:31], v[124:125], s[6:7]
	v_fma_f64 v[34:35], v[164:165], s[2:3], v[148:149]
	v_fma_f64 v[40:41], v[110:111], s[52:53], v[172:173]
	v_add_f64 v[130:131], v[24:25], v[94:95]
	v_add_f64 v[176:177], v[26:27], v[98:99]
	;; [unrolled: 1-line block ×3, first 2 shown]
	v_fma_f64 v[8:9], v[182:183], s[18:19], v[152:153]
	v_fma_f64 v[152:153], v[182:183], s[18:19], -v[152:153]
	v_add_f64 v[168:169], v[168:169], v[52:53]
	v_add_f64 v[174:175], v[174:175], v[54:55]
	v_fma_f64 v[52:53], v[164:165], s[2:3], -v[148:149]
	v_fma_f64 v[54:55], v[110:111], s[20:21], v[172:173]
	v_fma_f64 v[148:149], v[164:165], s[0:1], v[44:45]
	;; [unrolled: 1-line block ×3, first 2 shown]
	v_add_f64 v[150:151], v[150:151], v[162:163]
	v_mul_f64 v[162:163], v[124:125], s[16:17]
	v_add_f64 v[128:129], v[128:129], v[12:13]
	v_fma_f64 v[12:13], v[164:165], s[0:1], -v[44:45]
	v_fma_f64 v[44:45], v[110:111], s[14:15], v[46:47]
	v_mul_f64 v[46:47], v[184:185], s[28:29]
	v_add_f64 v[120:121], v[120:121], -v[142:143]
	v_fma_f64 v[182:183], v[164:165], s[6:7], v[28:29]
	v_fma_f64 v[186:187], v[110:111], s[40:41], v[30:31]
	v_add_f64 v[24:25], v[34:35], v[16:17]
	v_add_f64 v[26:27], v[40:41], v[18:19]
	;; [unrolled: 1-line block ×4, first 2 shown]
	v_fma_f64 v[40:41], v[164:165], s[6:7], -v[28:29]
	v_fma_f64 v[130:131], v[110:111], s[24:25], v[30:31]
	v_add_f64 v[160:161], v[8:9], v[160:161]
	v_add_f64 v[152:153], v[152:153], v[10:11]
	v_mul_f64 v[176:177], v[124:125], s[18:19]
	v_add_f64 v[8:9], v[52:53], v[36:37]
	v_add_f64 v[10:11], v[54:55], v[38:39]
	;; [unrolled: 1-line block ×4, first 2 shown]
	v_fma_f64 v[36:37], v[164:165], s[36:37], v[178:179]
	v_fma_f64 v[38:39], v[110:111], s[44:45], v[180:181]
	v_mul_f64 v[52:53], v[184:185], s[22:23]
	v_mul_f64 v[54:55], v[124:125], s[12:13]
	v_fma_f64 v[148:149], v[164:165], s[36:37], -v[178:179]
	v_fma_f64 v[166:167], v[110:111], s[48:49], v[180:181]
	v_fma_f64 v[170:171], v[110:111], s[50:51], v[162:163]
	v_add_f64 v[12:13], v[12:13], v[14:15]
	v_add_f64 v[14:15], v[44:45], v[32:33]
	v_fma_f64 v[44:45], v[164:165], s[16:17], v[46:47]
	v_add_f64 v[32:33], v[182:183], v[20:21]
	v_add_f64 v[178:179], v[16:17], v[122:123]
	;; [unrolled: 1-line block ×5, first 2 shown]
	v_add_f64 v[130:131], v[66:67], -v[58:59]
	v_add_f64 v[140:141], v[66:67], v[58:59]
	v_fma_f64 v[154:155], v[110:111], s[28:29], v[162:163]
	v_add_f64 v[34:35], v[186:187], v[22:23]
	v_mul_f64 v[172:173], v[184:185], s[34:35]
	v_fma_f64 v[66:67], v[164:165], s[16:17], -v[46:47]
	v_add_f64 v[40:41], v[36:37], v[42:43]
	v_add_f64 v[42:43], v[38:39], v[74:75]
	v_fma_f64 v[74:75], v[164:165], s[12:13], v[52:53]
	v_fma_f64 v[162:163], v[110:111], s[42:43], v[54:55]
	v_add_f64 v[20:21], v[148:149], v[48:49]
	v_add_f64 v[22:23], v[166:167], v[50:51]
	v_mul_f64 v[48:49], v[184:185], s[54:55]
	v_mul_f64 v[50:51], v[124:125], s[26:27]
	v_add_f64 v[46:47], v[170:171], v[158:159]
	v_fma_f64 v[148:149], v[110:111], s[22:23], v[54:55]
	v_add_f64 v[44:45], v[44:45], v[156:157]
	v_add_f64 v[166:167], v[178:179], v[132:133]
	;; [unrolled: 1-line block ×4, first 2 shown]
	v_add_f64 v[180:181], v[64:65], -v[56:57]
	v_mul_f64 v[182:183], v[130:131], s[46:47]
	v_mul_f64 v[184:185], v[140:141], s[0:1]
	v_add_f64 v[38:39], v[154:155], v[138:139]
	v_fma_f64 v[138:139], v[110:111], s[34:35], v[176:177]
	v_mul_f64 v[154:155], v[140:141], s[36:37]
	v_fma_f64 v[124:125], v[164:165], s[12:13], -v[52:53]
	v_fma_f64 v[156:157], v[164:165], s[18:19], v[172:173]
	v_fma_f64 v[158:159], v[110:111], s[30:31], v[176:177]
	v_add_f64 v[36:37], v[66:67], v[136:137]
	v_fma_f64 v[136:137], v[164:165], s[18:19], -v[172:173]
	v_add_f64 v[52:53], v[74:75], v[146:147]
	v_add_f64 v[54:55], v[162:163], v[72:73]
	v_add_f64 v[176:177], v[108:109], -v[144:145]
	v_fma_f64 v[72:73], v[164:165], s[26:27], v[48:49]
	v_fma_f64 v[74:75], v[110:111], s[38:39], v[50:51]
	v_fma_f64 v[162:163], v[164:165], s[26:27], -v[48:49]
	v_fma_f64 v[110:111], v[110:111], s[54:55], v[50:51]
	v_add_f64 v[50:51], v[148:149], v[62:63]
	v_add_f64 v[164:165], v[166:167], v[142:143]
	;; [unrolled: 1-line block ×4, first 2 shown]
	v_mul_f64 v[146:147], v[130:131], s[44:45]
	v_fma_f64 v[170:171], v[178:179], s[0:1], -v[182:183]
	v_fma_f64 v[172:173], v[180:181], s[46:47], v[184:185]
	v_mul_f64 v[148:149], v[140:141], s[12:13]
	v_add_f64 v[62:63], v[138:139], v[174:175]
	v_fma_f64 v[174:175], v[180:181], s[48:49], v[154:155]
	v_add_f64 v[48:49], v[124:125], v[60:61]
	v_mul_f64 v[124:125], v[130:131], s[42:43]
	v_add_f64 v[64:65], v[156:157], v[68:69]
	v_add_f64 v[66:67], v[158:159], v[70:71]
	v_fma_f64 v[158:159], v[180:181], s[14:15], v[184:185]
	v_add_f64 v[60:61], v[136:137], v[168:169]
	v_mul_f64 v[136:137], v[130:131], s[38:39]
	v_mul_f64 v[138:139], v[140:141], s[26:27]
	v_add_f64 v[72:73], v[72:73], v[160:161]
	v_mul_f64 v[184:185], v[130:131], s[24:25]
	v_add_f64 v[68:69], v[162:163], v[152:153]
	v_add_f64 v[70:71], v[110:111], v[128:129]
	v_fma_f64 v[128:129], v[180:181], s[44:45], v[154:155]
	v_mul_f64 v[152:153], v[130:131], s[34:35]
	v_mul_f64 v[154:155], v[140:141], s[18:19]
	;; [unrolled: 1-line block ×4, first 2 shown]
	v_add_f64 v[160:161], v[0:1], v[170:171]
	v_add_f64 v[162:163], v[2:3], v[172:173]
	v_mul_f64 v[172:173], v[130:131], s[28:29]
	v_mul_f64 v[130:131], v[130:131], s[20:21]
	v_add_f64 v[170:171], v[2:3], v[174:175]
	v_mul_f64 v[174:175], v[140:141], s[16:17]
	v_mul_f64 v[140:141], v[140:141], s[2:3]
	;; [unrolled: 1-line block ×3, first 2 shown]
	v_fma_f64 v[156:157], v[178:179], s[0:1], v[182:183]
	v_fma_f64 v[168:169], v[178:179], s[36:37], v[146:147]
	v_add_f64 v[74:75], v[74:75], v[150:151]
	v_fma_f64 v[110:111], v[178:179], s[36:37], -v[146:147]
	v_fma_f64 v[146:147], v[178:179], s[12:13], v[124:125]
	v_fma_f64 v[150:151], v[180:181], s[22:23], v[148:149]
	v_add_f64 v[56:57], v[164:165], v[56:57]
	v_add_f64 v[58:59], v[166:167], v[58:59]
	v_fma_f64 v[124:125], v[178:179], s[12:13], -v[124:125]
	v_fma_f64 v[148:149], v[180:181], s[42:43], v[148:149]
	v_fma_f64 v[164:165], v[178:179], s[26:27], v[136:137]
	v_fma_f64 v[166:167], v[180:181], s[54:55], v[138:139]
	v_fma_f64 v[136:137], v[178:179], s[26:27], -v[136:137]
	v_fma_f64 v[138:139], v[180:181], s[38:39], v[138:139]
	v_fma_f64 v[144:145], v[178:179], s[18:19], v[152:153]
	v_fma_f64 v[182:183], v[180:181], s[30:31], v[154:155]
	;; [unrolled: 4-line block ×4, first 2 shown]
	v_mul_f64 v[200:201], v[176:177], s[38:39]
	v_mul_f64 v[202:203], v[108:109], s[26:27]
	v_fma_f64 v[184:185], v[178:179], s[6:7], -v[184:185]
	v_fma_f64 v[186:187], v[180:181], s[24:25], v[186:187]
	v_fma_f64 v[208:209], v[178:179], s[2:3], v[130:131]
	;; [unrolled: 1-line block ×3, first 2 shown]
	v_fma_f64 v[130:131], v[178:179], s[2:3], -v[130:131]
	v_fma_f64 v[140:141], v[180:181], s[20:21], v[140:141]
	v_add_f64 v[158:159], v[2:3], v[158:159]
	v_mul_f64 v[212:213], v[176:177], s[28:29]
	v_fma_f64 v[178:179], v[192:193], s[36:37], v[142:143]
	v_fma_f64 v[180:181], v[120:121], s[48:49], v[194:195]
	v_fma_f64 v[142:143], v[192:193], s[36:37], -v[142:143]
	v_fma_f64 v[194:195], v[120:121], s[44:45], v[194:195]
	v_mul_f64 v[216:217], v[176:177], s[20:21]
	v_mul_f64 v[218:219], v[108:109], s[2:3]
	v_add_f64 v[156:157], v[0:1], v[156:157]
	v_add_f64 v[168:169], v[0:1], v[168:169]
	;; [unrolled: 1-line block ×18, first 2 shown]
	v_mul_f64 v[214:215], v[108:109], s[16:17]
	v_add_f64 v[172:173], v[0:1], v[172:173]
	v_add_f64 v[174:175], v[2:3], v[174:175]
	;; [unrolled: 1-line block ×4, first 2 shown]
	v_fma_f64 v[220:221], v[192:193], s[26:27], v[200:201]
	v_fma_f64 v[222:223], v[120:121], s[54:55], v[202:203]
	v_add_f64 v[184:185], v[0:1], v[184:185]
	v_add_f64 v[186:187], v[2:3], v[186:187]
	v_add_f64 v[208:209], v[0:1], v[208:209]
	v_add_f64 v[210:211], v[2:3], v[210:211]
	v_fma_f64 v[200:201], v[192:193], s[26:27], -v[200:201]
	v_fma_f64 v[202:203], v[120:121], s[38:39], v[202:203]
	v_add_f64 v[0:1], v[0:1], v[130:131]
	v_add_f64 v[2:3], v[2:3], v[140:141]
	v_mul_f64 v[130:131], v[176:177], s[40:41]
	v_mul_f64 v[140:141], v[108:109], s[6:7]
	v_add_f64 v[158:159], v[180:181], v[158:159]
	v_add_f64 v[142:143], v[142:143], v[160:161]
	;; [unrolled: 1-line block ×3, first 2 shown]
	v_fma_f64 v[162:163], v[192:193], s[16:17], -v[212:213]
	v_fma_f64 v[180:181], v[192:193], s[2:3], v[216:217]
	v_fma_f64 v[194:195], v[120:121], s[52:53], v[218:219]
	;; [unrolled: 1-line block ×4, first 2 shown]
	v_add_f64 v[156:157], v[178:179], v[156:157]
	v_fma_f64 v[178:179], v[120:121], s[28:29], v[214:215]
	v_add_f64 v[168:169], v[220:221], v[168:169]
	v_add_f64 v[170:171], v[222:223], v[170:171]
	v_mul_f64 v[212:213], v[176:177], s[30:31]
	v_mul_f64 v[214:215], v[108:109], s[18:19]
	;; [unrolled: 1-line block ×4, first 2 shown]
	v_add_f64 v[110:111], v[200:201], v[110:111]
	v_add_f64 v[128:129], v[202:203], v[128:129]
	v_add_f64 v[200:201], v[104:105], -v[134:135]
	v_add_f64 v[104:105], v[104:105], v[134:135]
	v_fma_f64 v[134:135], v[192:193], s[6:7], v[130:131]
	v_fma_f64 v[202:203], v[120:121], s[24:25], v[140:141]
	v_fma_f64 v[216:217], v[192:193], s[2:3], -v[216:217]
	v_fma_f64 v[218:219], v[120:121], s[20:21], v[218:219]
	v_fma_f64 v[130:131], v[192:193], s[6:7], -v[130:131]
	v_fma_f64 v[140:141], v[120:121], s[40:41], v[140:141]
	v_add_f64 v[124:125], v[162:163], v[124:125]
	v_add_f64 v[162:163], v[180:181], v[164:165]
	;; [unrolled: 1-line block ×3, first 2 shown]
	v_mul_f64 v[166:167], v[176:177], s[14:15]
	v_mul_f64 v[108:109], v[108:109], s[0:1]
	v_add_f64 v[148:149], v[178:179], v[148:149]
	v_add_f64 v[146:147], v[224:225], v[146:147]
	;; [unrolled: 1-line block ×3, first 2 shown]
	v_fma_f64 v[176:177], v[192:193], s[18:19], v[212:213]
	v_fma_f64 v[178:179], v[120:121], s[34:35], v[214:215]
	v_fma_f64 v[180:181], v[192:193], s[18:19], -v[212:213]
	v_fma_f64 v[194:195], v[120:121], s[30:31], v[214:215]
	v_add_f64 v[212:213], v[100:101], v[132:133]
	v_add_f64 v[100:101], v[100:101], -v[132:133]
	v_mul_f64 v[132:133], v[200:201], s[42:43]
	v_mul_f64 v[214:215], v[104:105], s[12:13]
	v_add_f64 v[134:135], v[134:135], v[144:145]
	v_add_f64 v[144:145], v[202:203], v[182:183]
	v_fma_f64 v[182:183], v[192:193], s[12:13], v[220:221]
	v_fma_f64 v[202:203], v[120:121], s[42:43], v[222:223]
	v_add_f64 v[136:137], v[216:217], v[136:137]
	v_add_f64 v[138:139], v[218:219], v[138:139]
	;; [unrolled: 1-line block ×4, first 2 shown]
	v_mul_f64 v[152:153], v[200:201], s[28:29]
	v_mul_f64 v[154:155], v[104:105], s[16:17]
	v_fma_f64 v[216:217], v[192:193], s[12:13], -v[220:221]
	v_fma_f64 v[218:219], v[120:121], s[22:23], v[222:223]
	v_fma_f64 v[220:221], v[192:193], s[0:1], v[166:167]
	;; [unrolled: 1-line block ×3, first 2 shown]
	v_fma_f64 v[166:167], v[192:193], s[0:1], -v[166:167]
	v_fma_f64 v[108:109], v[120:121], s[14:15], v[108:109]
	v_add_f64 v[176:177], v[176:177], v[188:189]
	v_add_f64 v[178:179], v[178:179], v[190:191]
	v_mul_f64 v[188:189], v[200:201], s[52:53]
	v_mul_f64 v[190:191], v[104:105], s[2:3]
	v_add_f64 v[120:121], v[180:181], v[172:173]
	v_add_f64 v[172:173], v[194:195], v[174:175]
	v_fma_f64 v[174:175], v[212:213], s[12:13], v[132:133]
	v_fma_f64 v[180:181], v[100:101], s[22:23], v[214:215]
	v_fma_f64 v[132:133], v[212:213], s[12:13], -v[132:133]
	v_fma_f64 v[192:193], v[100:101], s[42:43], v[214:215]
	v_add_f64 v[182:183], v[182:183], v[196:197]
	v_add_f64 v[194:195], v[202:203], v[198:199]
	v_mul_f64 v[196:197], v[200:201], s[30:31]
	v_mul_f64 v[198:199], v[104:105], s[18:19]
	v_fma_f64 v[202:203], v[212:213], s[16:17], v[152:153]
	v_fma_f64 v[214:215], v[100:101], s[50:51], v[154:155]
	v_fma_f64 v[152:153], v[212:213], s[16:17], -v[152:153]
	v_fma_f64 v[154:155], v[100:101], s[28:29], v[154:155]
	v_add_f64 v[184:185], v[216:217], v[184:185]
	v_add_f64 v[186:187], v[218:219], v[186:187]
	;; [unrolled: 1-line block ×4, first 2 shown]
	v_mul_f64 v[108:109], v[200:201], s[48:49]
	v_mul_f64 v[166:167], v[104:105], s[36:37]
	v_fma_f64 v[216:217], v[212:213], s[2:3], v[188:189]
	v_fma_f64 v[218:219], v[100:101], s[20:21], v[190:191]
	v_add_f64 v[208:209], v[220:221], v[208:209]
	v_add_f64 v[210:211], v[222:223], v[210:211]
	;; [unrolled: 1-line block ×6, first 2 shown]
	v_fma_f64 v[160:161], v[212:213], s[2:3], -v[188:189]
	v_fma_f64 v[174:175], v[100:101], s[52:53], v[190:191]
	v_fma_f64 v[180:181], v[212:213], s[18:19], v[196:197]
	;; [unrolled: 1-line block ×3, first 2 shown]
	v_mul_f64 v[190:191], v[200:201], s[46:47]
	v_mul_f64 v[192:193], v[104:105], s[0:1]
	v_add_f64 v[168:169], v[202:203], v[168:169]
	v_add_f64 v[170:171], v[214:215], v[170:171]
	v_fma_f64 v[196:197], v[212:213], s[18:19], -v[196:197]
	v_add_f64 v[110:111], v[152:153], v[110:111]
	v_add_f64 v[128:129], v[154:155], v[128:129]
	v_add_f64 v[152:153], v[118:119], -v[126:127]
	v_add_f64 v[118:119], v[118:119], v[126:127]
	v_fma_f64 v[126:127], v[212:213], s[36:37], v[108:109]
	v_fma_f64 v[154:155], v[100:101], s[44:45], v[166:167]
	v_mul_f64 v[202:203], v[200:201], s[38:39]
	v_mul_f64 v[214:215], v[104:105], s[26:27]
	v_fma_f64 v[198:199], v[100:101], s[30:31], v[198:199]
	v_fma_f64 v[108:109], v[212:213], s[36:37], -v[108:109]
	v_fma_f64 v[166:167], v[100:101], s[48:49], v[166:167]
	v_mul_f64 v[104:105], v[104:105], s[6:7]
	v_add_f64 v[146:147], v[216:217], v[146:147]
	v_add_f64 v[124:125], v[160:161], v[124:125]
	;; [unrolled: 1-line block ×5, first 2 shown]
	v_mul_f64 v[164:165], v[200:201], s[24:25]
	v_fma_f64 v[174:175], v[212:213], s[0:1], v[190:191]
	v_fma_f64 v[180:181], v[100:101], s[14:15], v[192:193]
	v_fma_f64 v[188:189], v[212:213], s[0:1], -v[190:191]
	v_add_f64 v[136:137], v[196:197], v[136:137]
	v_fma_f64 v[190:191], v[100:101], s[46:47], v[192:193]
	v_add_f64 v[192:193], v[116:117], v[122:123]
	v_add_f64 v[116:117], v[116:117], -v[122:123]
	v_mul_f64 v[122:123], v[152:153], s[38:39]
	v_mul_f64 v[196:197], v[118:119], s[26:27]
	v_add_f64 v[126:127], v[126:127], v[134:135]
	v_add_f64 v[134:135], v[154:155], v[144:145]
	v_fma_f64 v[144:145], v[212:213], s[26:27], v[202:203]
	v_fma_f64 v[154:155], v[100:101], s[54:55], v[214:215]
	v_add_f64 v[138:139], v[198:199], v[138:139]
	v_add_f64 v[108:109], v[108:109], v[130:131]
	;; [unrolled: 1-line block ×3, first 2 shown]
	v_mul_f64 v[140:141], v[152:153], s[20:21]
	v_mul_f64 v[166:167], v[118:119], s[2:3]
	v_fma_f64 v[198:199], v[212:213], s[26:27], -v[202:203]
	v_fma_f64 v[200:201], v[100:101], s[38:39], v[214:215]
	v_fma_f64 v[214:215], v[100:101], s[40:41], v[104:105]
	;; [unrolled: 1-line block ×3, first 2 shown]
	v_add_f64 v[174:175], v[174:175], v[176:177]
	v_add_f64 v[176:177], v[180:181], v[178:179]
	v_mul_f64 v[178:179], v[152:153], s[30:31]
	v_mul_f64 v[180:181], v[118:119], s[18:19]
	v_fma_f64 v[164:165], v[212:213], s[6:7], -v[164:165]
	v_fma_f64 v[100:101], v[100:101], s[24:25], v[104:105]
	v_add_f64 v[104:105], v[188:189], v[120:121]
	v_add_f64 v[120:121], v[190:191], v[172:173]
	v_fma_f64 v[172:173], v[192:193], s[26:27], v[122:123]
	v_fma_f64 v[188:189], v[116:117], s[54:55], v[196:197]
	v_fma_f64 v[122:123], v[192:193], s[26:27], -v[122:123]
	v_fma_f64 v[190:191], v[116:117], s[38:39], v[196:197]
	v_add_f64 v[144:145], v[144:145], v[182:183]
	v_add_f64 v[154:155], v[154:155], v[194:195]
	v_mul_f64 v[182:183], v[152:153], s[14:15]
	v_mul_f64 v[194:195], v[118:119], s[0:1]
	v_add_f64 v[150:151], v[218:219], v[150:151]
	v_fma_f64 v[196:197], v[192:193], s[2:3], v[140:141]
	v_fma_f64 v[212:213], v[116:117], s[52:53], v[166:167]
	v_add_f64 v[184:185], v[198:199], v[184:185]
	v_fma_f64 v[140:141], v[192:193], s[2:3], -v[140:141]
	v_add_f64 v[198:199], v[202:203], v[208:209]
	v_fma_f64 v[166:167], v[116:117], s[20:21], v[166:167]
	v_add_f64 v[186:187], v[200:201], v[186:187]
	v_fma_f64 v[202:203], v[192:193], s[18:19], v[178:179]
	v_fma_f64 v[208:209], v[116:117], s[34:35], v[180:181]
	v_add_f64 v[0:1], v[164:165], v[0:1]
	v_add_f64 v[2:3], v[100:101], v[2:3]
	v_mul_f64 v[100:101], v[152:153], s[42:43]
	v_mul_f64 v[164:165], v[118:119], s[12:13]
	v_add_f64 v[156:157], v[172:173], v[156:157]
	v_add_f64 v[158:159], v[188:189], v[158:159]
	;; [unrolled: 1-line block ×4, first 2 shown]
	v_fma_f64 v[142:143], v[192:193], s[18:19], -v[178:179]
	v_fma_f64 v[172:173], v[116:117], s[30:31], v[180:181]
	v_fma_f64 v[178:179], v[192:193], s[0:1], v[182:183]
	;; [unrolled: 1-line block ×3, first 2 shown]
	v_mul_f64 v[188:189], v[152:153], s[24:25]
	v_add_f64 v[168:169], v[196:197], v[168:169]
	v_mul_f64 v[190:191], v[118:119], s[6:7]
	v_fma_f64 v[182:183], v[192:193], s[0:1], -v[182:183]
	v_add_f64 v[110:111], v[140:141], v[110:111]
	v_mul_f64 v[196:197], v[152:153], s[50:51]
	v_add_f64 v[128:129], v[166:167], v[128:129]
	v_fma_f64 v[194:195], v[116:117], s[14:15], v[194:195]
	v_add_f64 v[140:141], v[202:203], v[146:147]
	v_add_f64 v[146:147], v[208:209], v[150:151]
	v_add_f64 v[150:151], v[112:113], -v[114:115]
	v_add_f64 v[112:113], v[112:113], v[114:115]
	v_fma_f64 v[114:115], v[192:193], s[12:13], v[100:101]
	v_fma_f64 v[166:167], v[116:117], s[22:23], v[164:165]
	v_mul_f64 v[202:203], v[118:119], s[16:17]
	v_fma_f64 v[100:101], v[192:193], s[12:13], -v[100:101]
	v_fma_f64 v[164:165], v[116:117], s[42:43], v[164:165]
	v_mul_f64 v[152:153], v[152:153], s[48:49]
	v_add_f64 v[124:125], v[142:143], v[124:125]
	v_add_f64 v[142:143], v[172:173], v[148:149]
	v_add_f64 v[148:149], v[178:179], v[160:161]
	v_add_f64 v[160:161], v[180:181], v[162:163]
	v_mul_f64 v[118:119], v[118:119], s[36:37]
	v_fma_f64 v[162:163], v[192:193], s[6:7], v[188:189]
	v_fma_f64 v[172:173], v[116:117], s[40:41], v[190:191]
	v_add_f64 v[136:137], v[182:183], v[136:137]
	v_fma_f64 v[178:179], v[192:193], s[6:7], -v[188:189]
	v_fma_f64 v[180:181], v[116:117], s[24:25], v[190:191]
	v_add_f64 v[182:183], v[102:103], v[106:107]
	v_add_f64 v[102:103], v[102:103], -v[106:107]
	v_add_f64 v[138:139], v[194:195], v[138:139]
	v_fma_f64 v[190:191], v[192:193], s[16:17], -v[196:197]
	v_mul_f64 v[106:107], v[150:151], s[34:35]
	v_mul_f64 v[188:189], v[112:113], s[18:19]
	v_add_f64 v[114:115], v[114:115], v[126:127]
	v_add_f64 v[126:127], v[166:167], v[134:135]
	v_fma_f64 v[134:135], v[192:193], s[16:17], v[196:197]
	v_fma_f64 v[166:167], v[116:117], s[28:29], v[202:203]
	v_add_f64 v[100:101], v[100:101], v[108:109]
	v_add_f64 v[108:109], v[164:165], v[130:131]
	v_mul_f64 v[130:131], v[150:151], s[40:41]
	v_mul_f64 v[164:165], v[112:113], s[6:7]
	v_fma_f64 v[194:195], v[116:117], s[50:51], v[202:203]
	v_fma_f64 v[196:197], v[192:193], s[36:37], v[152:153]
	;; [unrolled: 1-line block ×3, first 2 shown]
	v_add_f64 v[162:163], v[162:163], v[174:175]
	v_fma_f64 v[152:153], v[192:193], s[36:37], -v[152:153]
	v_fma_f64 v[116:117], v[116:117], s[48:49], v[118:119]
	v_mul_f64 v[118:119], v[150:151], s[48:49]
	v_mul_f64 v[174:175], v[112:113], s[36:37]
	v_add_f64 v[172:173], v[172:173], v[176:177]
	v_add_f64 v[104:105], v[178:179], v[104:105]
	v_add_f64 v[120:121], v[180:181], v[120:121]
	v_add_f64 v[184:185], v[190:191], v[184:185]
	v_fma_f64 v[176:177], v[182:183], s[18:19], v[106:107]
	v_fma_f64 v[178:179], v[102:103], s[30:31], v[188:189]
	v_fma_f64 v[106:107], v[182:183], s[18:19], -v[106:107]
	v_fma_f64 v[180:181], v[102:103], s[34:35], v[188:189]
	v_add_f64 v[134:135], v[134:135], v[144:145]
	v_add_f64 v[144:145], v[166:167], v[154:155]
	v_mul_f64 v[154:155], v[150:151], s[42:43]
	v_mul_f64 v[166:167], v[112:113], s[12:13]
	v_fma_f64 v[188:189], v[182:183], s[6:7], v[130:131]
	v_fma_f64 v[130:131], v[182:183], s[6:7], -v[130:131]
	v_fma_f64 v[192:193], v[102:103], s[24:25], v[164:165]
	v_add_f64 v[190:191], v[196:197], v[198:199]
	v_fma_f64 v[164:165], v[102:103], s[40:41], v[164:165]
	v_mul_f64 v[196:197], v[150:151], s[20:21]
	v_add_f64 v[0:1], v[152:153], v[0:1]
	v_add_f64 v[2:3], v[116:117], v[2:3]
	v_fma_f64 v[116:117], v[182:183], s[36:37], v[118:119]
	v_fma_f64 v[152:153], v[102:103], s[44:45], v[174:175]
	v_mul_f64 v[198:199], v[112:113], s[2:3]
	v_add_f64 v[170:171], v[212:213], v[170:171]
	v_fma_f64 v[118:119], v[182:183], s[36:37], -v[118:119]
	v_add_f64 v[200:201], v[214:215], v[210:211]
	v_add_f64 v[156:157], v[176:177], v[156:157]
	;; [unrolled: 1-line block ×5, first 2 shown]
	v_fma_f64 v[132:133], v[102:103], s[48:49], v[174:175]
	v_mul_f64 v[178:179], v[150:151], s[54:55]
	v_fma_f64 v[174:175], v[182:183], s[12:13], v[154:155]
	v_fma_f64 v[154:155], v[182:183], s[12:13], -v[154:155]
	v_fma_f64 v[176:177], v[102:103], s[22:23], v[166:167]
	v_add_f64 v[110:111], v[130:131], v[110:111]
	v_add_f64 v[130:131], v[96:97], -v[98:99]
	v_mul_f64 v[180:181], v[112:113], s[26:27]
	v_fma_f64 v[166:167], v[102:103], s[42:43], v[166:167]
	v_add_f64 v[128:129], v[164:165], v[128:129]
	v_add_f64 v[96:97], v[96:97], v[98:99]
	v_mul_f64 v[164:165], v[112:113], s[0:1]
	v_add_f64 v[98:99], v[116:117], v[140:141]
	v_add_f64 v[116:117], v[152:153], v[146:147]
	v_fma_f64 v[140:141], v[182:183], s[2:3], v[196:197]
	v_fma_f64 v[146:147], v[102:103], s[52:53], v[198:199]
	v_mul_f64 v[152:153], v[150:151], s[46:47]
	v_add_f64 v[168:169], v[188:189], v[168:169]
	v_add_f64 v[170:171], v[192:193], v[170:171]
	v_fma_f64 v[188:189], v[182:183], s[2:3], -v[196:197]
	v_fma_f64 v[192:193], v[102:103], s[20:21], v[198:199]
	v_add_f64 v[118:119], v[118:119], v[124:125]
	v_add_f64 v[124:125], v[132:133], v[142:143]
	v_mul_f64 v[112:113], v[112:113], s[16:17]
	v_add_f64 v[132:133], v[174:175], v[148:149]
	v_mul_f64 v[148:149], v[150:151], s[28:29]
	v_add_f64 v[136:137], v[154:155], v[136:137]
	v_add_f64 v[154:155], v[92:93], v[94:95]
	v_add_f64 v[92:93], v[92:93], -v[94:95]
	v_mul_f64 v[94:95], v[130:131], s[28:29]
	v_add_f64 v[142:143], v[176:177], v[160:161]
	v_fma_f64 v[150:151], v[182:183], s[26:27], v[178:179]
	v_fma_f64 v[160:161], v[102:103], s[38:39], v[180:181]
	v_add_f64 v[138:139], v[166:167], v[138:139]
	v_mul_f64 v[166:167], v[96:97], s[16:17]
	v_fma_f64 v[174:175], v[182:183], s[26:27], -v[178:179]
	v_fma_f64 v[176:177], v[102:103], s[54:55], v[180:181]
	v_add_f64 v[114:115], v[140:141], v[114:115]
	v_add_f64 v[126:127], v[146:147], v[126:127]
	v_fma_f64 v[140:141], v[182:183], s[0:1], v[152:153]
	v_fma_f64 v[146:147], v[102:103], s[14:15], v[164:165]
	v_mul_f64 v[178:179], v[130:131], s[30:31]
	v_mul_f64 v[180:181], v[96:97], s[18:19]
	v_add_f64 v[100:101], v[188:189], v[100:101]
	v_add_f64 v[108:109], v[192:193], v[108:109]
	v_fma_f64 v[164:165], v[102:103], s[46:47], v[164:165]
	v_fma_f64 v[192:193], v[102:103], s[50:51], v[112:113]
	;; [unrolled: 1-line block ×3, first 2 shown]
	v_fma_f64 v[148:149], v[182:183], s[16:17], -v[148:149]
	v_fma_f64 v[102:103], v[102:103], s[28:29], v[112:113]
	v_fma_f64 v[152:153], v[182:183], s[0:1], -v[152:153]
	v_fma_f64 v[112:113], v[154:155], s[16:17], v[94:95]
	v_fma_f64 v[94:95], v[154:155], s[16:17], -v[94:95]
	v_add_f64 v[150:151], v[150:151], v[162:163]
	v_add_f64 v[160:161], v[160:161], v[172:173]
	v_mul_f64 v[162:163], v[130:131], s[46:47]
	v_mul_f64 v[172:173], v[96:97], s[0:1]
	v_fma_f64 v[182:183], v[92:93], s[50:51], v[166:167]
	v_add_f64 v[104:105], v[174:175], v[104:105]
	v_add_f64 v[120:121], v[176:177], v[120:121]
	v_fma_f64 v[166:167], v[92:93], s[28:29], v[166:167]
	v_add_f64 v[134:135], v[140:141], v[134:135]
	v_add_f64 v[140:141], v[146:147], v[144:145]
	v_mul_f64 v[144:145], v[130:131], s[24:25]
	v_mul_f64 v[146:147], v[96:97], s[6:7]
	v_fma_f64 v[174:175], v[154:155], s[18:19], v[178:179]
	v_fma_f64 v[176:177], v[92:93], s[34:35], v[180:181]
	v_fma_f64 v[178:179], v[154:155], s[18:19], -v[178:179]
	v_fma_f64 v[180:181], v[92:93], s[30:31], v[180:181]
	v_add_f64 v[186:187], v[194:195], v[186:187]
	v_add_f64 v[0:1], v[148:149], v[0:1]
	;; [unrolled: 1-line block ×3, first 2 shown]
	v_mul_f64 v[148:149], v[130:131], s[54:55]
	v_add_f64 v[102:103], v[112:113], v[156:157]
	v_mul_f64 v[156:157], v[96:97], s[26:27]
	v_add_f64 v[152:153], v[152:153], v[184:185]
	v_add_f64 v[184:185], v[188:189], v[190:191]
	v_fma_f64 v[188:189], v[154:155], s[0:1], v[162:163]
	v_fma_f64 v[190:191], v[92:93], s[14:15], v[172:173]
	v_add_f64 v[112:113], v[182:183], v[158:159]
	v_add_f64 v[94:95], v[94:95], v[106:107]
	v_fma_f64 v[158:159], v[92:93], s[46:47], v[172:173]
	v_add_f64 v[106:107], v[166:167], v[122:123]
	v_fma_f64 v[122:123], v[154:155], s[0:1], -v[162:163]
	v_mul_f64 v[172:173], v[130:131], s[44:45]
	v_fma_f64 v[162:163], v[154:155], s[6:7], v[144:145]
	v_fma_f64 v[166:167], v[92:93], s[40:41], v[146:147]
	v_add_f64 v[168:169], v[174:175], v[168:169]
	v_add_f64 v[170:171], v[176:177], v[170:171]
	v_mul_f64 v[174:175], v[96:97], s[36:37]
	v_fma_f64 v[144:145], v[154:155], s[6:7], -v[144:145]
	v_fma_f64 v[146:147], v[92:93], s[24:25], v[146:147]
	v_add_f64 v[176:177], v[88:89], -v[90:91]
	v_add_f64 v[88:89], v[88:89], v[90:91]
	v_add_f64 v[194:195], v[202:203], v[200:201]
	v_add_f64 v[110:111], v[178:179], v[110:111]
	v_add_f64 v[128:129], v[180:181], v[128:129]
	v_mul_f64 v[90:91], v[130:131], s[20:21]
	v_mul_f64 v[178:179], v[96:97], s[2:3]
	v_fma_f64 v[180:181], v[154:155], s[26:27], v[148:149]
	v_fma_f64 v[182:183], v[92:93], s[38:39], v[156:157]
	v_fma_f64 v[148:149], v[154:155], s[26:27], -v[148:149]
	v_fma_f64 v[156:157], v[92:93], s[54:55], v[156:157]
	v_mul_f64 v[130:131], v[130:131], s[22:23]
	v_mul_f64 v[96:97], v[96:97], s[12:13]
	v_add_f64 v[118:119], v[122:123], v[118:119]
	v_add_f64 v[122:123], v[158:159], v[124:125]
	;; [unrolled: 1-line block ×4, first 2 shown]
	v_fma_f64 v[142:143], v[154:155], s[36:37], v[172:173]
	v_add_f64 v[162:163], v[84:85], v[86:87]
	v_fma_f64 v[158:159], v[92:93], s[48:49], v[174:175]
	v_add_f64 v[136:137], v[144:145], v[136:137]
	v_add_f64 v[138:139], v[146:147], v[138:139]
	v_fma_f64 v[144:145], v[154:155], s[36:37], -v[172:173]
	v_fma_f64 v[146:147], v[92:93], s[44:45], v[174:175]
	v_add_f64 v[84:85], v[84:85], -v[86:87]
	v_mul_f64 v[86:87], v[176:177], s[24:25]
	v_mul_f64 v[166:167], v[88:89], s[6:7]
	v_add_f64 v[164:165], v[164:165], v[186:187]
	v_add_f64 v[186:187], v[192:193], v[194:195]
	v_fma_f64 v[172:173], v[154:155], s[2:3], v[90:91]
	v_fma_f64 v[174:175], v[92:93], s[52:53], v[178:179]
	v_add_f64 v[114:115], v[180:181], v[114:115]
	v_add_f64 v[126:127], v[182:183], v[126:127]
	v_add_f64 v[100:101], v[148:149], v[100:101]
	v_add_f64 v[108:109], v[156:157], v[108:109]
	v_mul_f64 v[148:149], v[176:177], s[22:23]
	v_mul_f64 v[156:157], v[88:89], s[12:13]
	v_fma_f64 v[90:91], v[154:155], s[2:3], -v[90:91]
	v_fma_f64 v[178:179], v[92:93], s[20:21], v[178:179]
	v_fma_f64 v[180:181], v[154:155], s[12:13], v[130:131]
	;; [unrolled: 1-line block ×3, first 2 shown]
	v_fma_f64 v[130:131], v[154:155], s[12:13], -v[130:131]
	v_fma_f64 v[92:93], v[92:93], s[22:23], v[96:97]
	v_mul_f64 v[96:97], v[176:177], s[38:39]
	v_mul_f64 v[154:155], v[88:89], s[26:27]
	v_add_f64 v[142:143], v[142:143], v[150:151]
	v_add_f64 v[150:151], v[158:159], v[160:161]
	;; [unrolled: 1-line block ×4, first 2 shown]
	v_fma_f64 v[144:145], v[162:163], s[6:7], v[86:87]
	v_fma_f64 v[146:147], v[84:85], s[40:41], v[166:167]
	v_mul_f64 v[158:159], v[176:177], s[50:51]
	v_mul_f64 v[160:161], v[88:89], s[16:17]
	v_add_f64 v[98:99], v[188:189], v[98:99]
	v_add_f64 v[116:117], v[190:191], v[116:117]
	;; [unrolled: 1-line block ×4, first 2 shown]
	v_fma_f64 v[86:87], v[162:163], s[6:7], -v[86:87]
	v_fma_f64 v[166:167], v[84:85], s[24:25], v[166:167]
	v_fma_f64 v[172:173], v[162:163], s[12:13], v[148:149]
	;; [unrolled: 1-line block ×3, first 2 shown]
	v_add_f64 v[90:91], v[90:91], v[152:153]
	v_add_f64 v[152:153], v[178:179], v[164:165]
	;; [unrolled: 1-line block ×4, first 2 shown]
	v_fma_f64 v[148:149], v[162:163], s[12:13], -v[148:149]
	v_fma_f64 v[156:157], v[84:85], s[22:23], v[156:157]
	v_add_f64 v[0:1], v[130:131], v[0:1]
	v_add_f64 v[2:3], v[92:93], v[2:3]
	v_fma_f64 v[92:93], v[162:163], s[26:27], v[96:97]
	v_fma_f64 v[130:131], v[84:85], s[54:55], v[154:155]
	v_mul_f64 v[180:181], v[176:177], s[46:47]
	v_mul_f64 v[182:183], v[88:89], s[0:1]
	v_add_f64 v[102:103], v[144:145], v[102:103]
	v_add_f64 v[112:113], v[146:147], v[112:113]
	v_fma_f64 v[96:97], v[162:163], s[26:27], -v[96:97]
	v_fma_f64 v[144:145], v[84:85], s[38:39], v[154:155]
	v_fma_f64 v[146:147], v[162:163], s[16:17], v[158:159]
	;; [unrolled: 1-line block ×3, first 2 shown]
	v_add_f64 v[86:87], v[86:87], v[94:95]
	v_add_f64 v[94:95], v[166:167], v[106:107]
	;; [unrolled: 1-line block ×4, first 2 shown]
	v_fma_f64 v[158:159], v[162:163], s[16:17], -v[158:159]
	v_fma_f64 v[160:161], v[84:85], s[50:51], v[160:161]
	v_mul_f64 v[168:169], v[176:177], s[20:21]
	v_mul_f64 v[170:171], v[88:89], s[2:3]
	v_add_f64 v[110:111], v[148:149], v[110:111]
	v_add_f64 v[128:129], v[156:157], v[128:129]
	v_add_f64 v[148:149], v[80:81], -v[82:83]
	v_add_f64 v[156:157], v[80:81], v[82:83]
	v_add_f64 v[92:93], v[92:93], v[98:99]
	;; [unrolled: 1-line block ×3, first 2 shown]
	v_fma_f64 v[80:81], v[162:163], s[0:1], v[180:181]
	v_fma_f64 v[82:83], v[84:85], s[14:15], v[182:183]
	v_mul_f64 v[116:117], v[176:177], s[48:49]
	v_mul_f64 v[130:131], v[88:89], s[36:37]
	v_add_f64 v[96:97], v[96:97], v[118:119]
	v_add_f64 v[118:119], v[144:145], v[122:123]
	;; [unrolled: 1-line block ×4, first 2 shown]
	v_fma_f64 v[132:133], v[162:163], s[0:1], -v[180:181]
	v_fma_f64 v[144:145], v[84:85], s[46:47], v[182:183]
	v_mul_f64 v[146:147], v[176:177], s[34:35]
	v_mul_f64 v[88:89], v[88:89], s[18:19]
	v_add_f64 v[136:137], v[158:159], v[136:137]
	v_add_f64 v[138:139], v[160:161], v[138:139]
	v_fma_f64 v[154:155], v[162:163], s[2:3], v[168:169]
	v_fma_f64 v[158:159], v[84:85], s[52:53], v[170:171]
	v_add_f64 v[160:161], v[76:77], v[78:79]
	v_add_f64 v[172:173], v[76:77], -v[78:79]
	v_mul_f64 v[76:77], v[148:149], s[20:21]
	v_mul_f64 v[78:79], v[156:157], s[2:3]
	v_fma_f64 v[168:169], v[162:163], s[2:3], -v[168:169]
	v_mul_f64 v[174:175], v[148:149], s[14:15]
	v_add_f64 v[114:115], v[80:81], v[114:115]
	v_add_f64 v[126:127], v[82:83], v[126:127]
	v_fma_f64 v[80:81], v[162:163], s[36:37], v[116:117]
	v_fma_f64 v[82:83], v[84:85], s[44:45], v[130:131]
	v_mul_f64 v[176:177], v[156:157], s[0:1]
	v_fma_f64 v[116:117], v[162:163], s[36:37], -v[116:117]
	v_fma_f64 v[170:171], v[84:85], s[20:21], v[170:171]
	v_fma_f64 v[130:131], v[84:85], s[48:49], v[130:131]
	v_add_f64 v[132:133], v[132:133], v[100:101]
	v_add_f64 v[144:145], v[144:145], v[108:109]
	v_fma_f64 v[100:101], v[162:163], s[18:19], v[146:147]
	v_fma_f64 v[108:109], v[84:85], s[30:31], v[88:89]
	v_mul_f64 v[180:181], v[148:149], s[24:25]
	v_mul_f64 v[182:183], v[156:157], s[6:7]
	v_fma_f64 v[146:147], v[162:163], s[18:19], -v[146:147]
	v_fma_f64 v[84:85], v[84:85], s[34:35], v[88:89]
	v_add_f64 v[142:143], v[154:155], v[142:143]
	v_add_f64 v[150:151], v[158:159], v[150:151]
	v_fma_f64 v[88:89], v[160:161], s[2:3], v[76:77]
	v_fma_f64 v[154:155], v[172:173], s[52:53], v[78:79]
	v_add_f64 v[158:159], v[168:169], v[104:105]
	v_fma_f64 v[76:77], v[160:161], s[2:3], -v[76:77]
	v_fma_f64 v[78:79], v[172:173], s[20:21], v[78:79]
	v_add_f64 v[134:135], v[80:81], v[134:135]
	v_add_f64 v[140:141], v[82:83], v[140:141]
	v_fma_f64 v[80:81], v[160:161], s[0:1], v[174:175]
	v_fma_f64 v[82:83], v[172:173], s[46:47], v[176:177]
	v_add_f64 v[162:163], v[116:117], v[90:91]
	v_fma_f64 v[90:91], v[160:161], s[0:1], -v[174:175]
	v_fma_f64 v[104:105], v[172:173], s[14:15], v[176:177]
	v_add_f64 v[120:121], v[170:171], v[120:121]
	v_add_f64 v[130:131], v[130:131], v[152:153]
	;; [unrolled: 1-line block ×4, first 2 shown]
	v_fma_f64 v[100:101], v[160:161], s[6:7], v[180:181]
	v_fma_f64 v[108:109], v[172:173], s[40:41], v[182:183]
	v_mul_f64 v[116:117], v[148:149], s[48:49]
	v_mul_f64 v[170:171], v[156:157], s[36:37]
	v_add_f64 v[146:147], v[146:147], v[0:1]
	v_add_f64 v[168:169], v[84:85], v[2:3]
	v_add_f64 v[0:1], v[88:89], v[102:103]
	v_add_f64 v[2:3], v[154:155], v[112:113]
	v_mul_f64 v[102:103], v[148:149], s[28:29]
	v_mul_f64 v[112:113], v[156:157], s[16:17]
	v_add_f64 v[76:77], v[76:77], v[86:87]
	v_add_f64 v[78:79], v[78:79], v[94:95]
	v_mul_f64 v[94:95], v[148:149], s[22:23]
	v_mul_f64 v[154:155], v[156:157], s[12:13]
	v_add_f64 v[80:81], v[80:81], v[106:107]
	v_add_f64 v[82:83], v[82:83], v[166:167]
	;; [unrolled: 4-line block ×4, first 2 shown]
	v_fma_f64 v[92:93], v[160:161], s[6:7], -v[180:181]
	v_fma_f64 v[98:99], v[172:173], s[24:25], v[182:183]
	v_fma_f64 v[100:101], v[160:161], s[36:37], v[116:117]
	v_fma_f64 v[108:109], v[172:173], s[44:45], v[170:171]
	v_fma_f64 v[116:117], v[160:161], s[36:37], -v[116:117]
	v_fma_f64 v[128:129], v[172:173], s[48:49], v[170:171]
	v_fma_f64 v[148:149], v[160:161], s[16:17], v[102:103]
	v_fma_f64 v[156:157], v[172:173], s[50:51], v[112:113]
	;; [unrolled: 4-line block ×5, first 2 shown]
	v_fma_f64 v[160:161], v[160:161], s[26:27], -v[104:105]
	v_fma_f64 v[172:173], v[172:173], s[54:55], v[110:111]
	v_add_f64 v[92:93], v[92:93], v[96:97]
	v_add_f64 v[94:95], v[98:99], v[118:119]
	;; [unrolled: 1-line block ×22, first 2 shown]
	ds_write_b128 v206, v[4:7]
	ds_write_b128 v206, v[24:27] offset:112
	ds_write_b128 v206, v[28:31] offset:224
	;; [unrolled: 1-line block ×16, first 2 shown]
	ds_write_b128 v207, v[56:59]
	ds_write_b128 v207, v[0:3] offset:112
	ds_write_b128 v207, v[80:83] offset:224
	;; [unrolled: 1-line block ×16, first 2 shown]
	s_and_saveexec_b32 s33, vcc_lo
	s_cbranch_execz .LBB0_9
; %bb.8:
	s_clause 0x27
	buffer_load_dword v24, off, s[60:63], 0 offset:1952
	buffer_load_dword v25, off, s[60:63], 0 offset:1956
	;; [unrolled: 1-line block ×40, first 2 shown]
	s_waitcnt vmcnt(32)
	v_mul_f64 v[0:1], v[26:27], v[54:55]
	s_waitcnt vmcnt(24)
	v_mul_f64 v[2:3], v[38:39], v[58:59]
	v_mul_f64 v[6:7], v[38:39], v[56:57]
	s_clause 0x17
	buffer_load_dword v38, off, s[60:63], 0 offset:1888
	buffer_load_dword v39, off, s[60:63], 0 offset:1892
	;; [unrolled: 1-line block ×24, first 2 shown]
	s_waitcnt vmcnt(32)
	v_mul_f64 v[10:11], v[104:105], v[166:167]
	v_mul_f64 v[14:15], v[104:105], v[164:165]
	s_clause 0x17
	buffer_load_dword v74, off, s[60:63], 0 offset:1904
	buffer_load_dword v75, off, s[60:63], 0 offset:1908
	;; [unrolled: 1-line block ×24, first 2 shown]
	v_mul_f64 v[4:5], v[26:27], v[52:53]
	s_waitcnt vmcnt(48)
	v_mul_f64 v[16:17], v[80:81], v[142:143]
	v_mul_f64 v[34:35], v[80:81], v[140:141]
	;; [unrolled: 1-line block ×4, first 2 shown]
	v_fma_f64 v[118:119], v[24:25], v[52:53], v[0:1]
	v_fma_f64 v[20:21], v[36:37], v[56:57], v[2:3]
	v_fma_f64 v[138:139], v[24:25], v[54:55], -v[4:5]
	v_fma_f64 v[24:25], v[36:37], v[58:59], -v[6:7]
	v_fma_f64 v[50:51], v[48:49], v[160:161], v[8:9]
	v_fma_f64 v[56:57], v[48:49], v[162:163], -v[12:13]
	v_fma_f64 v[48:49], v[102:103], v[166:167], -v[14:15]
	v_add_f64 v[72:73], v[138:139], -v[24:25]
	v_mul_f64 v[200:201], v[72:73], s[28:29]
	s_waitcnt vmcnt(40)
	v_mul_f64 v[18:19], v[40:41], v[84:85]
	v_mul_f64 v[28:29], v[40:41], v[82:83]
	s_waitcnt vmcnt(24)
	v_mul_f64 v[32:33], v[94:95], v[158:159]
	v_mul_f64 v[0:1], v[94:95], v[156:157]
	s_clause 0x17
	buffer_load_dword v94, off, s[60:63], 0 offset:1872
	buffer_load_dword v95, off, s[60:63], 0 offset:1876
	;; [unrolled: 1-line block ×24, first 2 shown]
	s_waitcnt vmcnt(24)
	v_mul_f64 v[40:41], v[88:89], v[134:135]
	v_mul_f64 v[64:65], v[88:89], v[132:133]
	;; [unrolled: 1-line block ×7, first 2 shown]
	v_add_f64 v[46:47], v[118:119], -v[20:21]
	v_fma_f64 v[76:77], v[78:79], v[140:141], v[16:17]
	v_fma_f64 v[78:79], v[78:79], v[142:143], -v[34:35]
	v_mul_f64 v[36:37], v[100:101], v[152:153]
	v_fma_f64 v[110:111], v[38:39], v[82:83], v[18:19]
	v_fma_f64 v[112:113], v[38:39], v[84:85], -v[28:29]
	v_fma_f64 v[38:39], v[92:93], v[156:157], v[32:33]
	v_fma_f64 v[26:27], v[44:45], v[120:121], v[22:23]
	v_fma_f64 v[28:29], v[44:45], v[122:123], -v[30:31]
	v_fma_f64 v[44:45], v[102:103], v[164:165], v[10:11]
	v_fma_f64 v[34:35], v[98:99], v[152:153], v[4:5]
	;; [unrolled: 1-line block ×3, first 2 shown]
	v_mul_f64 v[4:5], v[46:47], s[24:25]
	v_mul_f64 v[198:199], v[46:47], s[28:29]
	v_add_f64 v[40:41], v[56:57], v[48:49]
	v_fma_f64 v[36:37], v[98:99], v[154:155], -v[36:37]
	s_waitcnt vmcnt(16)
	v_mul_f64 v[52:53], v[96:97], v[150:151]
	s_waitcnt vmcnt(8)
	v_mul_f64 v[42:43], v[70:71], v[116:117]
	;; [unrolled: 2-line block ×3, first 2 shown]
	v_mul_f64 v[60:61], v[106:107], v[124:125]
	s_clause 0xf
	buffer_load_dword v82, off, s[60:63], 0 offset:1824
	buffer_load_dword v83, off, s[60:63], 0 offset:1828
	;; [unrolled: 1-line block ×16, first 2 shown]
	v_mul_f64 v[58:59], v[70:71], v[114:115]
	v_mul_f64 v[18:19], v[96:97], v[148:149]
	v_add_f64 v[70:71], v[110:111], -v[26:27]
	v_fma_f64 v[140:141], v[68:69], v[114:115], v[42:43]
	v_fma_f64 v[30:31], v[104:105], v[124:125], v[54:55]
	v_fma_f64 v[32:33], v[104:105], v[126:127], -v[60:61]
	v_fma_f64 v[42:43], v[92:93], v[158:159], -v[0:1]
	;; [unrolled: 1-line block ×4, first 2 shown]
	v_add_f64 v[68:69], v[112:113], -v[28:29]
	v_add_f64 v[60:61], v[138:139], v[24:25]
	v_add_f64 v[54:55], v[118:119], v[20:21]
	v_mul_f64 v[0:1], v[46:47], s[20:21]
	v_mul_f64 v[6:7], v[72:73], s[24:25]
	v_add_f64 v[116:117], v[112:113], v[28:29]
	v_add_f64 v[114:115], v[110:111], v[26:27]
	v_mul_f64 v[8:9], v[70:71], s[14:15]
	v_mul_f64 v[12:13], v[70:71], s[22:23]
	v_add_f64 v[138:139], v[254:255], v[138:139]
	v_add_f64 v[136:137], v[140:141], -v[30:31]
	v_add_f64 v[124:125], v[92:93], -v[36:37]
	v_add_f64 v[102:103], v[142:143], v[32:33]
	v_mul_f64 v[10:11], v[68:69], s[14:15]
	v_mul_f64 v[14:15], v[68:69], s[22:23]
	v_fma_f64 v[212:213], v[60:61], s[16:17], v[198:199]
	v_fma_f64 v[16:17], v[60:61], s[2:3], v[0:1]
	v_fma_f64 v[0:1], v[60:61], s[2:3], -v[0:1]
	v_fma_f64 v[218:219], v[54:55], s[16:17], -v[200:201]
	v_fma_f64 v[200:201], v[54:55], s[16:17], v[200:201]
	v_add_f64 v[112:113], v[138:139], v[112:113]
	v_mul_f64 v[188:189], v[124:125], s[20:21]
	v_fma_f64 v[96:97], v[114:115], s[12:13], -v[14:15]
	v_fma_f64 v[14:15], v[114:115], s[12:13], v[14:15]
	v_add_f64 v[16:17], v[254:255], v[16:17]
	v_add_f64 v[0:1], v[254:255], v[0:1]
	;; [unrolled: 1-line block ×3, first 2 shown]
	s_waitcnt vmcnt(8)
	v_mul_f64 v[22:23], v[84:85], v[108:109]
	s_waitcnt vmcnt(0)
	v_mul_f64 v[62:63], v[90:91], v[130:131]
	v_mul_f64 v[66:67], v[84:85], v[106:107]
	;; [unrolled: 1-line block ×3, first 2 shown]
	v_fma_f64 v[90:91], v[74:75], v[144:145], v[2:3]
	v_mul_f64 v[2:3], v[72:73], s[20:21]
	v_fma_f64 v[74:75], v[94:95], v[148:149], v[52:53]
	v_fma_f64 v[144:145], v[86:87], v[134:135], -v[64:65]
	v_add_f64 v[134:135], v[142:143], -v[32:33]
	v_fma_f64 v[64:65], v[54:55], s[6:7], -v[6:7]
	v_fma_f64 v[86:87], v[116:117], s[0:1], v[8:9]
	v_fma_f64 v[8:9], v[116:117], s[0:1], -v[8:9]
	v_fma_f64 v[6:7], v[54:55], s[6:7], v[6:7]
	v_add_f64 v[52:53], v[50:51], -v[44:45]
	v_fma_f64 v[146:147], v[82:83], v[106:107], v[22:23]
	v_fma_f64 v[58:59], v[88:89], v[128:129], v[62:63]
	v_fma_f64 v[148:149], v[82:83], v[108:109], -v[66:67]
	v_fma_f64 v[62:63], v[88:89], v[130:131], -v[80:81]
	;; [unrolled: 1-line block ×4, first 2 shown]
	v_fma_f64 v[2:3], v[54:55], s[2:3], v[2:3]
	v_fma_f64 v[22:23], v[60:61], s[6:7], v[4:5]
	v_add_f64 v[108:109], v[140:141], v[30:31]
	v_mul_f64 v[66:67], v[136:137], s[24:25]
	v_mul_f64 v[84:85], v[134:135], s[24:25]
	;; [unrolled: 1-line block ×4, first 2 shown]
	v_fma_f64 v[88:89], v[114:115], s[0:1], -v[10:11]
	v_fma_f64 v[10:11], v[114:115], s[0:1], v[10:11]
	v_fma_f64 v[94:95], v[116:117], s[12:13], v[12:13]
	v_add_f64 v[104:105], v[252:253], v[64:65]
	v_add_f64 v[130:131], v[120:121], -v[74:75]
	v_add_f64 v[16:17], v[86:87], v[16:17]
	v_add_f64 v[0:1], v[8:9], v[0:1]
	v_add_f64 v[98:99], v[90:91], -v[34:35]
	v_add_f64 v[80:81], v[76:77], -v[38:39]
	v_fma_f64 v[4:5], v[60:61], s[6:7], -v[4:5]
	v_add_f64 v[132:133], v[146:147], -v[58:59]
	v_add_f64 v[106:107], v[146:147], v[58:59]
	v_add_f64 v[128:129], v[148:149], -v[62:63]
	v_add_f64 v[100:101], v[148:149], v[62:63]
	v_add_f64 v[18:19], v[252:253], v[18:19]
	;; [unrolled: 1-line block ×4, first 2 shown]
	v_add_f64 v[126:127], v[144:145], -v[82:83]
	v_fma_f64 v[160:161], v[102:103], s[6:7], v[66:67]
	v_fma_f64 v[162:163], v[108:109], s[6:7], -v[84:85]
	v_fma_f64 v[164:165], v[102:103], s[6:7], -v[66:67]
	v_fma_f64 v[166:167], v[108:109], s[6:7], v[84:85]
	v_fma_f64 v[168:169], v[102:103], s[26:27], v[150:151]
	v_fma_f64 v[170:171], v[108:109], s[26:27], -v[152:153]
	v_add_f64 v[64:65], v[78:79], v[42:43]
	v_add_f64 v[84:85], v[56:57], -v[48:49]
	v_mul_f64 v[174:175], v[130:131], s[46:47]
	v_add_f64 v[86:87], v[76:77], v[38:39]
	v_fma_f64 v[12:13], v[116:117], s[12:13], -v[12:13]
	v_add_f64 v[6:7], v[252:253], v[6:7]
	v_add_f64 v[66:67], v[50:51], v[44:45]
	;; [unrolled: 1-line block ×3, first 2 shown]
	v_mul_f64 v[122:123], v[132:133], s[48:49]
	v_mul_f64 v[156:157], v[132:133], s[50:51]
	;; [unrolled: 1-line block ×4, first 2 shown]
	v_add_f64 v[18:19], v[88:89], v[18:19]
	v_add_f64 v[2:3], v[10:11], v[2:3]
	;; [unrolled: 1-line block ×6, first 2 shown]
	v_mul_f64 v[22:23], v[130:131], s[28:29]
	v_mul_f64 v[172:173], v[126:127], s[28:29]
	;; [unrolled: 1-line block ×3, first 2 shown]
	v_add_f64 v[16:17], v[160:161], v[16:17]
	v_add_f64 v[0:1], v[164:165], v[0:1]
	;; [unrolled: 1-line block ×4, first 2 shown]
	v_mul_f64 v[164:165], v[98:99], s[22:23]
	v_mul_f64 v[160:161], v[52:53], s[54:55]
	v_fma_f64 v[150:151], v[102:103], s[26:27], -v[150:151]
	v_fma_f64 v[152:153], v[108:109], s[26:27], v[152:153]
	v_add_f64 v[4:5], v[12:13], v[4:5]
	v_fma_f64 v[178:179], v[100:101], s[36:37], v[122:123]
	v_fma_f64 v[182:183], v[100:101], s[36:37], -v[122:123]
	v_fma_f64 v[180:181], v[106:107], s[36:37], -v[154:155]
	v_fma_f64 v[154:155], v[106:107], s[36:37], v[154:155]
	v_fma_f64 v[184:185], v[100:101], s[16:17], v[156:157]
	v_fma_f64 v[186:187], v[106:107], s[16:17], -v[158:159]
	v_add_f64 v[18:19], v[162:163], v[18:19]
	v_add_f64 v[2:3], v[166:167], v[2:3]
	;; [unrolled: 1-line block ×4, first 2 shown]
	v_add_f64 v[122:123], v[78:79], -v[42:43]
	v_mul_f64 v[168:169], v[124:125], s[22:23]
	v_mul_f64 v[170:171], v[98:99], s[20:21]
	v_fma_f64 v[190:191], v[96:97], s[16:17], v[22:23]
	v_fma_f64 v[192:193], v[104:105], s[16:17], -v[172:173]
	v_fma_f64 v[22:23], v[96:97], s[16:17], -v[22:23]
	v_fma_f64 v[172:173], v[104:105], s[16:17], v[172:173]
	v_fma_f64 v[194:195], v[96:97], s[0:1], v[174:175]
	v_fma_f64 v[196:197], v[104:105], s[0:1], -v[176:177]
	v_mul_f64 v[162:163], v[80:81], s[34:35]
	v_fma_f64 v[202:203], v[88:89], s[12:13], v[164:165]
	v_fma_f64 v[164:165], v[88:89], s[12:13], -v[164:165]
	v_add_f64 v[16:17], v[178:179], v[16:17]
	v_add_f64 v[0:1], v[182:183], v[0:1]
	v_fma_f64 v[210:211], v[94:95], s[2:3], -v[188:189]
	v_mul_f64 v[166:167], v[84:85], s[54:55]
	v_mul_f64 v[178:179], v[52:53], s[34:35]
	v_mul_f64 v[182:183], v[84:85], s[34:35]
	v_add_f64 v[18:19], v[180:181], v[18:19]
	v_add_f64 v[2:3], v[154:155], v[2:3]
	;; [unrolled: 1-line block ×4, first 2 shown]
	v_mul_f64 v[154:155], v[122:123], s[34:35]
	v_mul_f64 v[180:181], v[80:81], s[48:49]
	;; [unrolled: 1-line block ×3, first 2 shown]
	v_fma_f64 v[206:207], v[94:95], s[12:13], -v[168:169]
	v_fma_f64 v[168:169], v[94:95], s[12:13], v[168:169]
	v_fma_f64 v[208:209], v[88:89], s[2:3], v[170:171]
	v_mul_f64 v[186:187], v[136:137], s[46:47]
	v_add_f64 v[6:7], v[14:15], v[6:7]
	v_fma_f64 v[156:157], v[100:101], s[16:17], -v[156:157]
	v_add_f64 v[150:151], v[150:151], v[4:5]
	v_fma_f64 v[158:159], v[106:107], s[16:17], v[158:159]
	v_fma_f64 v[176:177], v[104:105], s[0:1], v[176:177]
	v_add_f64 v[16:17], v[190:191], v[16:17]
	v_add_f64 v[0:1], v[22:23], v[0:1]
	v_mul_f64 v[22:23], v[70:71], s[30:31]
	v_mul_f64 v[190:191], v[68:69], s[30:31]
	v_fma_f64 v[12:13], v[40:41], s[18:19], v[178:179]
	v_fma_f64 v[188:189], v[94:95], s[2:3], v[188:189]
	v_add_f64 v[18:19], v[192:193], v[18:19]
	v_add_f64 v[2:3], v[172:173], v[2:3]
	;; [unrolled: 1-line block ×4, first 2 shown]
	v_mul_f64 v[172:173], v[134:135], s[46:47]
	v_mul_f64 v[192:193], v[46:47], s[34:35]
	v_fma_f64 v[194:195], v[64:65], s[18:19], v[162:163]
	v_fma_f64 v[196:197], v[86:87], s[18:19], -v[154:155]
	v_fma_f64 v[162:163], v[64:65], s[18:19], -v[162:163]
	v_fma_f64 v[154:155], v[86:87], s[18:19], v[154:155]
	v_fma_f64 v[214:215], v[64:65], s[36:37], v[180:181]
	v_fma_f64 v[216:217], v[86:87], s[36:37], -v[184:185]
	v_add_f64 v[152:153], v[152:153], v[6:7]
	v_add_f64 v[150:151], v[156:157], v[150:151]
	v_fma_f64 v[156:157], v[88:89], s[2:3], -v[170:171]
	v_mul_f64 v[170:171], v[136:137], s[48:49]
	v_add_f64 v[16:17], v[202:203], v[16:17]
	v_add_f64 v[0:1], v[164:165], v[0:1]
	v_fma_f64 v[164:165], v[60:61], s[16:17], -v[198:199]
	v_fma_f64 v[202:203], v[116:117], s[18:19], v[22:23]
	v_fma_f64 v[198:199], v[66:67], s[26:27], -v[166:167]
	v_fma_f64 v[166:167], v[66:67], s[26:27], v[166:167]
	v_add_f64 v[18:19], v[206:207], v[18:19]
	v_add_f64 v[2:3], v[168:169], v[2:3]
	;; [unrolled: 1-line block ×5, first 2 shown]
	v_fma_f64 v[210:211], v[114:115], s[18:19], -v[190:191]
	v_add_f64 v[212:213], v[252:253], v[218:219]
	v_fma_f64 v[168:169], v[40:41], s[26:27], v[160:161]
	v_fma_f64 v[160:161], v[40:41], s[26:27], -v[160:161]
	v_fma_f64 v[208:209], v[66:67], s[18:19], -v[182:183]
	;; [unrolled: 1-line block ×4, first 2 shown]
	v_add_f64 v[152:153], v[158:159], v[152:153]
	v_mul_f64 v[158:159], v[98:99], s[44:45]
	v_fma_f64 v[184:185], v[86:87], s[36:37], v[184:185]
	v_fma_f64 v[182:183], v[66:67], s[18:19], v[182:183]
	v_add_f64 v[14:15], v[194:195], v[16:17]
	v_add_f64 v[0:1], v[162:163], v[0:1]
	;; [unrolled: 1-line block ×3, first 2 shown]
	v_mul_f64 v[164:165], v[132:133], s[24:25]
	v_mul_f64 v[194:195], v[128:129], s[24:25]
	v_mul_f64 v[138:139], v[126:127], s[42:43]
	v_add_f64 v[16:17], v[196:197], v[18:19]
	v_add_f64 v[2:3], v[154:155], v[2:3]
	;; [unrolled: 1-line block ×4, first 2 shown]
	v_mul_f64 v[196:197], v[70:71], s[40:41]
	v_mul_f64 v[214:215], v[72:73], s[34:35]
	v_fma_f64 v[216:217], v[102:103], s[0:1], v[186:187]
	v_add_f64 v[202:203], v[202:203], v[206:207]
	v_fma_f64 v[206:207], v[108:109], s[0:1], -v[172:173]
	v_add_f64 v[210:211], v[210:211], v[212:213]
	v_fma_f64 v[186:187], v[102:103], s[0:1], -v[186:187]
	v_fma_f64 v[172:173], v[108:109], s[0:1], v[172:173]
	v_add_f64 v[152:153], v[176:177], v[152:153]
	v_mul_f64 v[176:177], v[80:81], s[20:21]
	v_add_f64 v[112:113], v[112:113], v[148:149]
	v_add_f64 v[6:7], v[168:169], v[14:15]
	;; [unrolled: 1-line block ×3, first 2 shown]
	v_mul_f64 v[14:15], v[130:131], s[54:55]
	v_fma_f64 v[168:169], v[114:115], s[18:19], v[190:191]
	v_add_f64 v[190:191], v[254:255], v[218:219]
	v_add_f64 v[4:5], v[198:199], v[16:17]
	;; [unrolled: 1-line block ×6, first 2 shown]
	v_fma_f64 v[16:17], v[96:97], s[0:1], -v[174:175]
	v_fma_f64 v[18:19], v[60:61], s[18:19], v[192:193]
	v_fma_f64 v[22:23], v[100:101], s[6:7], v[164:165]
	v_mul_f64 v[154:155], v[68:69], s[40:41]
	v_fma_f64 v[160:161], v[54:55], s[18:19], -v[214:215]
	v_add_f64 v[162:163], v[216:217], v[202:203]
	v_mul_f64 v[166:167], v[126:127], s[54:55]
	v_fma_f64 v[174:175], v[116:117], s[6:7], -v[196:197]
	v_add_f64 v[192:193], v[252:253], v[200:201]
	v_fma_f64 v[198:199], v[106:107], s[6:7], -v[194:195]
	v_add_f64 v[200:201], v[206:207], v[210:211]
	v_fma_f64 v[164:165], v[100:101], s[6:7], -v[164:165]
	v_fma_f64 v[196:197], v[116:117], s[6:7], v[196:197]
	v_mul_f64 v[202:203], v[134:135], s[48:49]
	v_fma_f64 v[208:209], v[102:103], s[36:37], -v[170:171]
	v_fma_f64 v[170:171], v[102:103], s[36:37], v[170:171]
	v_add_f64 v[152:153], v[188:189], v[152:153]
	v_mul_f64 v[188:189], v[52:53], s[22:23]
	v_add_f64 v[112:113], v[112:113], v[144:145]
	v_add_f64 v[12:13], v[186:187], v[12:13]
	v_fma_f64 v[186:187], v[96:97], s[26:27], v[14:15]
	v_add_f64 v[18:19], v[254:255], v[18:19]
	v_add_f64 v[16:17], v[16:17], v[150:151]
	v_fma_f64 v[206:207], v[114:115], s[6:7], -v[154:155]
	v_add_f64 v[160:161], v[252:253], v[160:161]
	v_add_f64 v[22:23], v[22:23], v[162:163]
	v_mul_f64 v[162:163], v[124:125], s[44:45]
	v_add_f64 v[174:175], v[174:175], v[190:191]
	v_add_f64 v[168:169], v[168:169], v[192:193]
	v_fma_f64 v[190:191], v[104:105], s[26:27], -v[166:167]
	v_add_f64 v[192:193], v[198:199], v[200:201]
	v_fma_f64 v[150:151], v[64:65], s[36:37], -v[180:181]
	v_mul_f64 v[180:181], v[132:133], s[42:43]
	v_fma_f64 v[14:15], v[96:97], s[26:27], -v[14:15]
	v_fma_f64 v[198:199], v[108:109], s[36:37], -v[202:203]
	v_fma_f64 v[154:155], v[114:115], s[6:7], v[154:155]
	v_add_f64 v[152:153], v[184:185], v[152:153]
	v_mul_f64 v[184:185], v[46:47], s[38:39]
	v_fma_f64 v[202:203], v[108:109], s[36:37], v[202:203]
	v_add_f64 v[92:93], v[112:113], v[92:93]
	v_add_f64 v[12:13], v[164:165], v[12:13]
	v_fma_f64 v[164:165], v[88:89], s[36:37], v[158:159]
	v_add_f64 v[18:19], v[196:197], v[18:19]
	v_mul_f64 v[196:197], v[128:129], s[42:43]
	v_add_f64 v[16:17], v[156:157], v[16:17]
	v_add_f64 v[160:161], v[206:207], v[160:161]
	v_add_f64 v[22:23], v[186:187], v[22:23]
	v_fma_f64 v[156:157], v[40:41], s[18:19], -v[178:179]
	v_mul_f64 v[178:179], v[122:123], s[20:21]
	v_fma_f64 v[186:187], v[106:107], s[6:7], v[194:195]
	v_add_f64 v[168:169], v[172:173], v[168:169]
	v_fma_f64 v[172:173], v[94:95], s[36:37], -v[162:163]
	v_add_f64 v[190:191], v[190:191], v[192:193]
	v_mul_f64 v[194:195], v[130:131], s[20:21]
	v_fma_f64 v[200:201], v[100:101], s[12:13], -v[180:181]
	v_add_f64 v[174:175], v[208:209], v[174:175]
	v_fma_f64 v[158:159], v[88:89], s[36:37], -v[158:159]
	v_fma_f64 v[180:181], v[100:101], s[12:13], v[180:181]
	v_add_f64 v[78:79], v[92:93], v[78:79]
	v_add_f64 v[12:13], v[14:15], v[12:13]
	v_fma_f64 v[14:15], v[64:65], s[2:3], v[176:177]
	v_add_f64 v[18:19], v[170:171], v[18:19]
	v_mul_f64 v[170:171], v[126:127], s[20:21]
	v_fma_f64 v[192:193], v[106:107], s[12:13], -v[196:197]
	v_add_f64 v[160:161], v[198:199], v[160:161]
	v_add_f64 v[22:23], v[164:165], v[22:23]
	;; [unrolled: 1-line block ×3, first 2 shown]
	v_mul_f64 v[150:151], v[84:85], s[22:23]
	v_fma_f64 v[164:165], v[104:105], s[26:27], v[166:167]
	v_fma_f64 v[198:199], v[54:55], s[18:19], v[214:215]
	v_add_f64 v[168:169], v[186:187], v[168:169]
	v_fma_f64 v[186:187], v[86:87], s[2:3], -v[178:179]
	v_add_f64 v[172:173], v[172:173], v[190:191]
	v_mul_f64 v[166:167], v[98:99], s[54:55]
	v_fma_f64 v[206:207], v[96:97], s[2:3], -v[194:195]
	v_add_f64 v[174:175], v[200:201], v[174:175]
	v_fma_f64 v[176:177], v[64:65], s[2:3], -v[176:177]
	v_fma_f64 v[190:191], v[96:97], s[2:3], v[194:195]
	v_mul_f64 v[194:195], v[124:125], s[54:55]
	v_fma_f64 v[178:179], v[86:87], s[2:3], v[178:179]
	v_mul_f64 v[214:215], v[70:71], s[28:29]
	v_add_f64 v[12:13], v[158:159], v[12:13]
	v_fma_f64 v[158:159], v[40:41], s[12:13], v[188:189]
	v_add_f64 v[180:181], v[180:181], v[18:19]
	v_fma_f64 v[200:201], v[104:105], s[2:3], -v[170:171]
	v_fma_f64 v[170:171], v[104:105], s[2:3], v[170:171]
	v_add_f64 v[160:161], v[192:193], v[160:161]
	v_add_f64 v[14:15], v[14:15], v[22:23]
	v_fma_f64 v[22:23], v[94:95], s[36:37], v[162:163]
	v_mul_f64 v[192:193], v[72:73], s[38:39]
	v_add_f64 v[18:19], v[156:157], v[16:17]
	v_add_f64 v[198:199], v[252:253], v[198:199]
	;; [unrolled: 1-line block ×3, first 2 shown]
	v_fma_f64 v[168:169], v[66:67], s[12:13], -v[150:151]
	v_add_f64 v[172:173], v[186:187], v[172:173]
	v_fma_f64 v[156:157], v[40:41], s[12:13], -v[188:189]
	v_mul_f64 v[186:187], v[70:71], s[20:21]
	v_fma_f64 v[188:189], v[60:61], s[26:27], v[184:185]
	v_mul_f64 v[162:163], v[80:81], s[46:47]
	v_fma_f64 v[208:209], v[88:89], s[26:27], -v[166:167]
	v_add_f64 v[174:175], v[206:207], v[174:175]
	v_add_f64 v[16:17], v[182:183], v[152:153]
	v_fma_f64 v[152:153], v[88:89], s[26:27], v[166:167]
	v_add_f64 v[176:177], v[176:177], v[12:13]
	v_fma_f64 v[182:183], v[94:95], s[26:27], -v[194:195]
	v_add_f64 v[166:167], v[190:191], v[180:181]
	v_mul_f64 v[180:181], v[122:123], s[46:47]
	v_mul_f64 v[190:191], v[52:53], s[28:29]
	v_add_f64 v[160:161], v[200:201], v[160:161]
	v_mul_f64 v[200:201], v[68:69], s[20:21]
	v_add_f64 v[14:15], v[158:159], v[14:15]
	v_fma_f64 v[206:207], v[54:55], s[26:27], -v[192:193]
	v_mul_f64 v[158:159], v[136:137], s[30:31]
	v_add_f64 v[154:155], v[154:155], v[198:199]
	v_add_f64 v[164:165], v[22:23], v[164:165]
	v_fma_f64 v[192:193], v[54:55], s[26:27], v[192:193]
	v_add_f64 v[12:13], v[168:169], v[172:173]
	v_fma_f64 v[168:169], v[60:61], s[26:27], -v[184:185]
	v_fma_f64 v[172:173], v[116:117], s[2:3], v[186:187]
	v_add_f64 v[184:185], v[254:255], v[188:189]
	v_fma_f64 v[198:199], v[64:65], s[0:1], -v[162:163]
	v_mul_f64 v[188:189], v[134:135], s[30:31]
	v_add_f64 v[174:175], v[208:209], v[174:175]
	v_mul_f64 v[208:209], v[46:47], s[42:43]
	v_fma_f64 v[194:195], v[94:95], s[26:27], v[194:195]
	v_add_f64 v[22:23], v[156:157], v[176:177]
	v_fma_f64 v[156:157], v[64:65], s[0:1], v[162:163]
	v_add_f64 v[162:163], v[152:153], v[166:167]
	v_fma_f64 v[176:177], v[86:87], s[0:1], -v[180:181]
	v_fma_f64 v[210:211], v[40:41], s[16:17], -v[190:191]
	v_add_f64 v[160:161], v[182:183], v[160:161]
	v_fma_f64 v[182:183], v[106:107], s[12:13], v[196:197]
	v_fma_f64 v[196:197], v[114:115], s[2:3], -v[200:201]
	v_add_f64 v[206:207], v[252:253], v[206:207]
	v_fma_f64 v[200:201], v[114:115], s[2:3], v[200:201]
	v_add_f64 v[202:203], v[202:203], v[154:155]
	v_add_f64 v[152:153], v[178:179], v[164:165]
	v_fma_f64 v[178:179], v[116:117], s[2:3], -v[186:187]
	v_mul_f64 v[186:187], v[72:73], s[42:43]
	v_mul_f64 v[164:165], v[132:133], s[14:15]
	v_add_f64 v[168:169], v[254:255], v[168:169]
	v_add_f64 v[172:173], v[172:173], v[184:185]
	;; [unrolled: 1-line block ×3, first 2 shown]
	v_fma_f64 v[212:213], v[108:109], s[18:19], -v[188:189]
	v_add_f64 v[174:175], v[198:199], v[174:175]
	v_fma_f64 v[198:199], v[102:103], s[18:19], v[158:159]
	v_fma_f64 v[216:217], v[60:61], s[12:13], v[208:209]
	v_fma_f64 v[158:159], v[102:103], s[18:19], -v[158:159]
	v_add_f64 v[192:193], v[252:253], v[192:193]
	v_add_f64 v[156:157], v[156:157], v[162:163]
	v_mul_f64 v[162:163], v[128:129], s[14:15]
	v_fma_f64 v[142:143], v[116:117], s[16:17], -v[214:215]
	v_add_f64 v[160:161], v[176:177], v[160:161]
	v_mul_f64 v[176:177], v[68:69], s[28:29]
	v_fma_f64 v[188:189], v[108:109], s[18:19], v[188:189]
	v_add_f64 v[196:197], v[196:197], v[206:207]
	v_mul_f64 v[206:207], v[136:137], s[52:53]
	v_add_f64 v[182:183], v[182:183], v[202:203]
	v_mul_f64 v[166:167], v[84:85], s[28:29]
	v_fma_f64 v[154:155], v[40:41], s[16:17], v[190:191]
	v_fma_f64 v[202:203], v[54:55], s[12:13], -v[186:187]
	v_fma_f64 v[186:187], v[54:55], s[12:13], v[186:187]
	v_add_f64 v[168:169], v[178:179], v[168:169]
	v_fma_f64 v[178:179], v[100:101], s[0:1], v[164:165]
	v_add_f64 v[110:111], v[184:185], v[110:111]
	v_fma_f64 v[164:165], v[100:101], s[0:1], -v[164:165]
	v_add_f64 v[118:119], v[210:211], v[174:175]
	v_mul_f64 v[174:175], v[130:131], s[42:43]
	v_add_f64 v[172:173], v[198:199], v[172:173]
	v_fma_f64 v[198:199], v[60:61], s[12:13], -v[208:209]
	v_fma_f64 v[208:209], v[116:117], s[16:17], v[214:215]
	v_add_f64 v[210:211], v[254:255], v[216:217]
	v_fma_f64 v[184:185], v[106:107], s[0:1], -v[162:163]
	v_add_f64 v[192:193], v[200:201], v[192:193]
	v_mul_f64 v[200:201], v[132:133], s[30:31]
	v_fma_f64 v[216:217], v[114:115], s[16:17], -v[176:177]
	v_fma_f64 v[162:163], v[106:107], s[0:1], v[162:163]
	v_add_f64 v[196:197], v[212:213], v[196:197]
	v_mul_f64 v[212:213], v[134:135], s[52:53]
	v_add_f64 v[170:171], v[170:171], v[182:183]
	v_mul_f64 v[182:183], v[98:99], s[24:25]
	v_fma_f64 v[214:215], v[102:103], s[2:3], v[206:207]
	v_add_f64 v[202:203], v[252:253], v[202:203]
	v_fma_f64 v[148:149], v[102:103], s[2:3], -v[206:207]
	v_add_f64 v[158:159], v[158:159], v[168:169]
	v_fma_f64 v[176:177], v[114:115], s[16:17], v[176:177]
	v_add_f64 v[110:111], v[110:111], v[140:141]
	v_fma_f64 v[140:141], v[104:105], s[12:13], -v[138:139]
	v_add_f64 v[186:187], v[252:253], v[186:187]
	v_fma_f64 v[168:169], v[96:97], s[12:13], v[174:175]
	v_add_f64 v[172:173], v[178:179], v[172:173]
	v_mul_f64 v[178:179], v[124:125], s[24:25]
	v_add_f64 v[198:199], v[254:255], v[198:199]
	v_add_f64 v[208:209], v[208:209], v[210:211]
	v_fma_f64 v[174:175], v[96:97], s[12:13], -v[174:175]
	v_add_f64 v[188:189], v[188:189], v[192:193]
	v_mul_f64 v[192:193], v[130:131], s[48:49]
	v_fma_f64 v[190:191], v[66:67], s[16:17], -v[166:167]
	v_fma_f64 v[144:145], v[100:101], s[18:19], -v[200:201]
	v_add_f64 v[184:185], v[184:185], v[196:197]
	v_mul_f64 v[196:197], v[128:129], s[30:31]
	v_fma_f64 v[210:211], v[108:109], s[2:3], -v[212:213]
	v_add_f64 v[170:171], v[194:195], v[170:171]
	v_mul_f64 v[194:195], v[80:81], s[50:51]
	v_add_f64 v[202:203], v[216:217], v[202:203]
	v_fma_f64 v[180:181], v[86:87], s[0:1], v[180:181]
	v_add_f64 v[158:159], v[164:165], v[158:159]
	v_fma_f64 v[164:165], v[88:89], s[6:7], v[182:183]
	v_add_f64 v[110:111], v[110:111], v[146:147]
	v_fma_f64 v[182:183], v[88:89], s[6:7], -v[182:183]
	v_add_f64 v[176:177], v[176:177], v[186:187]
	v_add_f64 v[56:57], v[78:79], v[56:57]
	;; [unrolled: 1-line block ×3, first 2 shown]
	v_mul_f64 v[172:173], v[122:123], s[50:51]
	v_fma_f64 v[146:147], v[94:95], s[6:7], -v[178:179]
	v_add_f64 v[142:143], v[142:143], v[198:199]
	v_fma_f64 v[198:199], v[100:101], s[18:19], v[200:201]
	v_add_f64 v[206:207], v[214:215], v[208:209]
	v_mul_f64 v[208:209], v[126:127], s[48:49]
	v_fma_f64 v[112:113], v[96:97], s[36:37], -v[192:193]
	v_fma_f64 v[138:139], v[104:105], s[12:13], v[138:139]
	v_add_f64 v[140:141], v[140:141], v[184:185]
	v_fma_f64 v[214:215], v[106:107], s[18:19], -v[196:197]
	v_mul_f64 v[184:185], v[52:53], s[48:49]
	v_fma_f64 v[150:151], v[66:67], s[12:13], v[150:151]
	v_fma_f64 v[186:187], v[64:65], s[16:17], -v[194:195]
	v_add_f64 v[202:203], v[210:211], v[202:203]
	v_add_f64 v[170:171], v[180:181], v[170:171]
	;; [unrolled: 1-line block ×3, first 2 shown]
	v_fma_f64 v[174:175], v[64:65], s[16:17], v[194:195]
	v_add_f64 v[110:111], v[110:111], v[120:121]
	v_mul_f64 v[194:195], v[124:125], s[46:47]
	v_add_f64 v[48:49], v[56:57], v[48:49]
	v_add_f64 v[164:165], v[164:165], v[168:169]
	v_fma_f64 v[120:121], v[86:87], s[16:17], -v[172:173]
	v_mul_f64 v[168:169], v[84:85], s[48:49]
	v_add_f64 v[142:143], v[148:149], v[142:143]
	v_add_f64 v[148:149], v[162:163], v[188:189]
	v_mul_f64 v[162:163], v[98:99], s[46:47]
	v_fma_f64 v[188:189], v[96:97], s[36:37], v[192:193]
	v_add_f64 v[198:199], v[198:199], v[206:207]
	v_fma_f64 v[200:201], v[104:105], s[36:37], -v[208:209]
	v_add_f64 v[140:141], v[146:147], v[140:141]
	v_fma_f64 v[146:147], v[66:67], s[16:17], v[166:167]
	v_fma_f64 v[166:167], v[108:109], s[2:3], v[212:213]
	;; [unrolled: 1-line block ×3, first 2 shown]
	v_add_f64 v[202:203], v[214:215], v[202:203]
	v_add_f64 v[158:159], v[182:183], v[158:159]
	v_fma_f64 v[182:183], v[106:107], s[18:19], v[196:197]
	v_add_f64 v[90:91], v[110:111], v[90:91]
	v_mul_f64 v[196:197], v[84:85], s[24:25]
	v_add_f64 v[42:43], v[48:49], v[42:43]
	v_add_f64 v[164:165], v[174:175], v[164:165]
	v_fma_f64 v[110:111], v[66:67], s[36:37], -v[168:169]
	v_add_f64 v[142:143], v[144:145], v[142:143]
	v_fma_f64 v[144:145], v[94:95], s[6:7], v[178:179]
	v_fma_f64 v[174:175], v[88:89], s[0:1], v[162:163]
	v_fma_f64 v[162:163], v[88:89], s[0:1], -v[162:163]
	v_add_f64 v[178:179], v[188:189], v[198:199]
	v_fma_f64 v[188:189], v[94:95], s[0:1], -v[194:195]
	v_add_f64 v[120:121], v[120:121], v[140:141]
	v_mul_f64 v[140:141], v[46:47], s[44:45]
	v_add_f64 v[166:167], v[166:167], v[176:177]
	v_mul_f64 v[46:47], v[46:47], s[46:47]
	v_fma_f64 v[176:177], v[40:41], s[36:37], -v[184:185]
	v_add_f64 v[192:193], v[200:201], v[202:203]
	v_mul_f64 v[184:185], v[122:123], s[38:39]
	v_add_f64 v[158:159], v[186:187], v[158:159]
	v_fma_f64 v[186:187], v[104:105], s[36:37], v[208:209]
	v_add_f64 v[76:77], v[90:91], v[76:77]
	v_mul_f64 v[90:91], v[72:73], s[46:47]
	v_mul_f64 v[72:73], v[72:73], s[44:45]
	;; [unrolled: 1-line block ×3, first 2 shown]
	v_add_f64 v[36:37], v[42:43], v[36:37]
	v_add_f64 v[138:139], v[138:139], v[148:149]
	v_mul_f64 v[148:149], v[80:81], s[38:39]
	v_add_f64 v[92:93], v[112:113], v[142:143]
	v_fma_f64 v[112:113], v[86:87], s[16:17], v[172:173]
	v_mul_f64 v[142:143], v[52:53], s[24:25]
	v_fma_f64 v[168:169], v[66:67], s[36:37], v[168:169]
	v_add_f64 v[172:173], v[174:175], v[178:179]
	v_mul_f64 v[174:175], v[70:71], s[38:39]
	v_mul_f64 v[70:71], v[70:71], s[44:45]
	v_fma_f64 v[178:179], v[60:61], s[36:37], -v[140:141]
	v_add_f64 v[166:167], v[182:183], v[166:167]
	v_mul_f64 v[182:183], v[68:69], s[38:39]
	v_mul_f64 v[68:69], v[68:69], s[44:45]
	v_add_f64 v[188:189], v[188:189], v[192:193]
	v_fma_f64 v[192:193], v[60:61], s[0:1], -v[46:47]
	v_fma_f64 v[46:47], v[60:61], s[0:1], v[46:47]
	v_fma_f64 v[198:199], v[86:87], s[26:27], -v[184:185]
	v_add_f64 v[50:51], v[76:77], v[50:51]
	v_fma_f64 v[76:77], v[54:55], s[0:1], v[90:91]
	v_fma_f64 v[78:79], v[54:55], s[36:37], v[72:73]
	;; [unrolled: 1-line block ×3, first 2 shown]
	v_fma_f64 v[72:73], v[54:55], s[36:37], -v[72:73]
	v_mul_f64 v[60:61], v[136:137], s[42:43]
	v_fma_f64 v[54:55], v[54:55], s[0:1], -v[90:91]
	v_add_f64 v[92:93], v[162:163], v[92:93]
	v_fma_f64 v[162:163], v[86:87], s[26:27], v[184:185]
	v_fma_f64 v[184:185], v[94:95], s[0:1], v[194:195]
	v_mul_f64 v[194:195], v[136:137], s[28:29]
	v_mul_f64 v[90:91], v[134:135], s[42:43]
	v_fma_f64 v[200:201], v[116:117], s[26:27], -v[174:175]
	v_fma_f64 v[134:135], v[116:117], s[36:37], -v[70:71]
	v_add_f64 v[178:179], v[254:255], v[178:179]
	v_add_f64 v[166:167], v[186:187], v[166:167]
	v_fma_f64 v[186:187], v[114:115], s[26:27], v[182:183]
	v_fma_f64 v[70:71], v[116:117], s[36:37], v[70:71]
	v_fma_f64 v[182:183], v[114:115], s[26:27], -v[182:183]
	v_add_f64 v[136:137], v[254:255], v[192:193]
	v_add_f64 v[46:47], v[254:255], v[46:47]
	v_fma_f64 v[192:193], v[114:115], s[36:37], v[68:69]
	v_add_f64 v[44:45], v[50:51], v[44:45]
	v_add_f64 v[50:51], v[252:253], v[76:77]
	;; [unrolled: 1-line block ×3, first 2 shown]
	v_mul_f64 v[76:77], v[132:133], s[20:21]
	v_fma_f64 v[78:79], v[116:117], s[26:27], v[174:175]
	v_add_f64 v[140:141], v[254:255], v[140:141]
	v_add_f64 v[72:73], v[252:253], v[72:73]
	v_mul_f64 v[132:133], v[132:133], s[38:39]
	v_fma_f64 v[68:69], v[114:115], s[36:37], -v[68:69]
	v_add_f64 v[54:55], v[252:253], v[54:55]
	v_fma_f64 v[206:207], v[102:103], s[16:17], -v[194:195]
	v_fma_f64 v[116:117], v[102:103], s[12:13], -v[60:61]
	v_fma_f64 v[60:61], v[102:103], s[12:13], v[60:61]
	v_mul_f64 v[174:175], v[128:129], s[20:21]
	v_add_f64 v[178:179], v[200:201], v[178:179]
	v_fma_f64 v[200:201], v[108:109], s[16:17], v[202:203]
	v_mul_f64 v[114:115], v[128:129], s[38:39]
	v_add_f64 v[36:37], v[36:37], v[82:83]
	v_add_f64 v[138:139], v[144:145], v[138:139]
	;; [unrolled: 1-line block ×4, first 2 shown]
	v_fma_f64 v[134:135], v[108:109], s[12:13], v[90:91]
	v_add_f64 v[38:39], v[44:45], v[38:39]
	v_add_f64 v[44:45], v[192:193], v[50:51]
	;; [unrolled: 1-line block ×3, first 2 shown]
	v_mul_f64 v[50:51], v[130:131], s[40:41]
	v_fma_f64 v[56:57], v[102:103], s[16:17], v[194:195]
	v_add_f64 v[78:79], v[78:79], v[140:141]
	v_fma_f64 v[140:141], v[108:109], s[16:17], -v[202:203]
	v_add_f64 v[72:73], v[182:183], v[72:73]
	v_fma_f64 v[182:183], v[100:101], s[2:3], -v[76:77]
	v_mul_f64 v[130:131], v[130:131], s[34:35]
	v_fma_f64 v[70:71], v[108:109], s[12:13], -v[90:91]
	v_add_f64 v[54:55], v[68:69], v[54:55]
	v_fma_f64 v[90:91], v[100:101], s[26:27], -v[132:133]
	v_mul_f64 v[136:137], v[126:127], s[40:41]
	v_add_f64 v[178:179], v[206:207], v[178:179]
	v_fma_f64 v[186:187], v[106:107], s[2:3], v[174:175]
	v_mul_f64 v[68:69], v[126:127], s[34:35]
	v_fma_f64 v[108:109], v[106:107], s[26:27], v[114:115]
	v_fma_f64 v[144:145], v[64:65], s[26:27], v[148:149]
	v_add_f64 v[102:103], v[116:117], v[128:129]
	v_add_f64 v[46:47], v[60:61], v[46:47]
	v_fma_f64 v[60:61], v[106:107], s[26:27], -v[114:115]
	v_add_f64 v[34:35], v[38:39], v[34:35]
	v_add_f64 v[38:39], v[134:135], v[44:45]
	v_add_f64 v[42:43], v[200:201], v[48:49]
	v_fma_f64 v[48:49], v[100:101], s[2:3], v[76:77]
	v_fma_f64 v[100:101], v[100:101], s[26:27], v[132:133]
	v_mul_f64 v[44:45], v[98:99], s[30:31]
	v_add_f64 v[56:57], v[56:57], v[78:79]
	v_fma_f64 v[78:79], v[106:107], s[2:3], -v[174:175]
	v_add_f64 v[72:73], v[140:141], v[72:73]
	v_fma_f64 v[116:117], v[96:97], s[6:7], -v[50:51]
	v_mul_f64 v[98:99], v[98:99], s[28:29]
	v_add_f64 v[54:55], v[70:71], v[54:55]
	v_fma_f64 v[106:107], v[96:97], s[18:19], -v[130:131]
	v_fma_f64 v[50:51], v[96:97], s[6:7], v[50:51]
	v_add_f64 v[126:127], v[182:183], v[178:179]
	v_fma_f64 v[96:97], v[96:97], s[18:19], v[130:131]
	v_mul_f64 v[76:77], v[124:125], s[30:31]
	v_mul_f64 v[70:71], v[124:125], s[28:29]
	v_fma_f64 v[82:83], v[104:105], s[6:7], -v[136:137]
	v_add_f64 v[90:91], v[90:91], v[102:103]
	v_fma_f64 v[102:103], v[104:105], s[18:19], v[68:69]
	v_fma_f64 v[68:69], v[104:105], s[18:19], -v[68:69]
	v_add_f64 v[34:35], v[34:35], v[74:75]
	v_add_f64 v[38:39], v[108:109], v[38:39]
	v_mul_f64 v[74:75], v[80:81], s[22:23]
	v_mul_f64 v[80:81], v[80:81], s[24:25]
	v_add_f64 v[46:47], v[100:101], v[46:47]
	v_fma_f64 v[148:149], v[64:65], s[26:27], -v[148:149]
	v_add_f64 v[48:49], v[48:49], v[56:57]
	v_fma_f64 v[128:129], v[104:105], s[6:7], v[136:137]
	v_add_f64 v[72:73], v[78:79], v[72:73]
	v_fma_f64 v[78:79], v[88:89], s[18:19], -v[44:45]
	v_fma_f64 v[100:101], v[88:89], s[16:17], -v[98:99]
	v_add_f64 v[54:55], v[60:61], v[54:55]
	v_fma_f64 v[44:45], v[88:89], s[18:19], v[44:45]
	v_fma_f64 v[88:89], v[88:89], s[16:17], v[98:99]
	v_add_f64 v[108:109], v[116:117], v[126:127]
	v_mul_f64 v[56:57], v[122:123], s[22:23]
	v_fma_f64 v[114:115], v[94:95], s[18:19], v[76:77]
	v_mul_f64 v[60:61], v[122:123], s[24:25]
	v_fma_f64 v[104:105], v[94:95], s[16:17], v[70:71]
	v_add_f64 v[90:91], v[106:107], v[90:91]
	v_add_f64 v[36:37], v[36:37], v[62:63]
	v_fma_f64 v[62:63], v[94:95], s[18:19], -v[76:77]
	v_add_f64 v[34:35], v[34:35], v[58:59]
	v_add_f64 v[38:39], v[102:103], v[38:39]
	v_mul_f64 v[58:59], v[52:53], s[14:15]
	v_fma_f64 v[76:77], v[64:65], s[12:13], -v[74:75]
	v_add_f64 v[46:47], v[96:97], v[46:47]
	v_mul_f64 v[52:53], v[52:53], s[20:21]
	v_add_f64 v[48:49], v[50:51], v[48:49]
	v_mul_f64 v[50:51], v[84:85], s[14:15]
	v_add_f64 v[72:73], v[82:83], v[72:73]
	v_fma_f64 v[74:75], v[64:65], s[12:13], v[74:75]
	v_fma_f64 v[70:71], v[94:95], s[16:17], -v[70:71]
	v_add_f64 v[54:55], v[68:69], v[54:55]
	v_mul_f64 v[68:69], v[84:85], s[20:21]
	v_fma_f64 v[84:85], v[64:65], s[6:7], -v[80:81]
	v_add_f64 v[78:79], v[78:79], v[108:109]
	v_fma_f64 v[64:65], v[64:65], s[6:7], v[80:81]
	v_fma_f64 v[82:83], v[86:87], s[12:13], v[56:57]
	;; [unrolled: 1-line block ×3, first 2 shown]
	v_add_f64 v[42:43], v[186:187], v[42:43]
	v_add_f64 v[90:91], v[100:101], v[90:91]
	;; [unrolled: 1-line block ×3, first 2 shown]
	v_fma_f64 v[60:61], v[86:87], s[6:7], -v[60:61]
	v_add_f64 v[30:31], v[34:35], v[30:31]
	v_add_f64 v[34:35], v[104:105], v[38:39]
	;; [unrolled: 1-line block ×5, first 2 shown]
	v_fma_f64 v[104:105], v[40:41], s[2:3], v[52:53]
	v_add_f64 v[44:45], v[44:45], v[48:49]
	v_fma_f64 v[48:49], v[86:87], s[12:13], -v[56:57]
	v_add_f64 v[56:57], v[62:63], v[72:73]
	v_fma_f64 v[62:63], v[40:41], s[0:1], -v[58:59]
	v_fma_f64 v[96:97], v[66:67], s[6:7], v[196:197]
	v_add_f64 v[54:55], v[70:71], v[54:55]
	v_fma_f64 v[80:81], v[66:67], s[2:3], v[68:69]
	v_fma_f64 v[70:71], v[66:67], s[0:1], v[50:51]
	v_add_f64 v[72:73], v[76:77], v[78:79]
	v_fma_f64 v[76:77], v[40:41], s[2:3], -v[52:53]
	v_add_f64 v[88:89], v[112:113], v[138:139]
	v_fma_f64 v[98:99], v[66:67], s[6:7], -v[196:197]
	v_add_f64 v[42:43], v[128:129], v[42:43]
	v_add_f64 v[78:79], v[84:85], v[90:91]
	;; [unrolled: 1-line block ×3, first 2 shown]
	v_fma_f64 v[90:91], v[40:41], s[6:7], v[142:143]
	v_add_f64 v[32:33], v[30:31], v[26:27]
	v_add_f64 v[84:85], v[94:95], v[34:35]
	;; [unrolled: 1-line block ×6, first 2 shown]
	v_fma_f64 v[58:59], v[40:41], s[0:1], v[58:59]
	v_add_f64 v[74:75], v[74:75], v[44:45]
	v_fma_f64 v[102:103], v[66:67], s[0:1], -v[50:51]
	v_add_f64 v[56:57], v[48:49], v[56:57]
	v_fma_f64 v[66:67], v[66:67], s[2:3], -v[68:69]
	v_add_f64 v[60:61], v[60:61], v[54:55]
	v_add_f64 v[26:27], v[176:177], v[158:159]
	;; [unrolled: 1-line block ×8, first 2 shown]
	v_fma_f64 v[42:43], v[40:41], s[6:7], -v[142:143]
	v_add_f64 v[38:39], v[76:77], v[78:79]
	v_add_f64 v[48:49], v[110:111], v[120:121]
	;; [unrolled: 1-line block ×6, first 2 shown]
	s_clause 0x1
	buffer_load_dword v64, off, s[60:63], 0 offset:1108
	buffer_load_dword v65, off, s[60:63], 0 offset:1372
	v_add_f64 v[52:53], v[98:99], v[100:101]
	v_add_f64 v[58:59], v[58:59], v[74:75]
	;; [unrolled: 1-line block ×11, first 2 shown]
	s_waitcnt vmcnt(0)
	v_lshl_add_u32 v64, v65, 4, v64
	ds_write_b128 v64, v[40:43] offset:7616
	ds_write_b128 v64, v[36:39] offset:7728
	;; [unrolled: 1-line block ×17, first 2 shown]
.LBB0_9:
	s_or_b32 exec_lo, exec_lo, s33
	s_waitcnt lgkmcnt(0)
	s_barrier
	buffer_gl0_inv
	ds_read_b128 v[0:3], v204 offset:1904
	s_clause 0x3
	buffer_load_dword v6, off, s[60:63], 0 offset:1440
	buffer_load_dword v7, off, s[60:63], 0 offset:1444
	;; [unrolled: 1-line block ×4, first 2 shown]
	s_mov_b32 s2, 0x134454ff
	s_mov_b32 s3, 0xbfee6f0e
	;; [unrolled: 1-line block ×10, first 2 shown]
	s_waitcnt vmcnt(0) lgkmcnt(0)
	v_mul_f64 v[4:5], v[8:9], v[2:3]
	v_fma_f64 v[12:13], v[6:7], v[0:1], v[4:5]
	v_mul_f64 v[0:1], v[8:9], v[0:1]
	v_fma_f64 v[14:15], v[6:7], v[2:3], -v[0:1]
	ds_read_b128 v[0:3], v204 offset:3808
	s_clause 0x3
	buffer_load_dword v6, off, s[60:63], 0 offset:1408
	buffer_load_dword v7, off, s[60:63], 0 offset:1412
	;; [unrolled: 1-line block ×4, first 2 shown]
	s_waitcnt vmcnt(0) lgkmcnt(0)
	v_mul_f64 v[4:5], v[8:9], v[2:3]
	v_fma_f64 v[16:17], v[6:7], v[0:1], v[4:5]
	v_mul_f64 v[0:1], v[8:9], v[0:1]
	v_fma_f64 v[18:19], v[6:7], v[2:3], -v[0:1]
	ds_read_b128 v[0:3], v204 offset:5712
	s_clause 0x3
	buffer_load_dword v6, off, s[60:63], 0 offset:1392
	buffer_load_dword v7, off, s[60:63], 0 offset:1396
	;; [unrolled: 1-line block ×4, first 2 shown]
	s_waitcnt vmcnt(0) lgkmcnt(0)
	v_mul_f64 v[4:5], v[8:9], v[2:3]
	v_fma_f64 v[20:21], v[6:7], v[0:1], v[4:5]
	v_mul_f64 v[0:1], v[8:9], v[0:1]
	v_add_f64 v[134:135], v[16:17], -v[20:21]
	v_fma_f64 v[22:23], v[6:7], v[2:3], -v[0:1]
	ds_read_b128 v[0:3], v204 offset:7616
	s_clause 0x3
	buffer_load_dword v6, off, s[60:63], 0 offset:1376
	buffer_load_dword v7, off, s[60:63], 0 offset:1380
	;; [unrolled: 1-line block ×4, first 2 shown]
	v_add_f64 v[38:39], v[18:19], -v[22:23]
	s_waitcnt vmcnt(0) lgkmcnt(0)
	v_mul_f64 v[4:5], v[8:9], v[2:3]
	v_fma_f64 v[24:25], v[6:7], v[0:1], v[4:5]
	v_mul_f64 v[0:1], v[8:9], v[0:1]
	v_add_f64 v[132:133], v[12:13], -v[24:25]
	v_fma_f64 v[26:27], v[6:7], v[2:3], -v[0:1]
	ds_read_b128 v[0:3], v204 offset:2176
	s_clause 0x3
	buffer_load_dword v6, off, s[60:63], 0 offset:1504
	buffer_load_dword v7, off, s[60:63], 0 offset:1508
	;; [unrolled: 1-line block ×4, first 2 shown]
	v_add_f64 v[128:129], v[14:15], -v[26:27]
	s_waitcnt vmcnt(0) lgkmcnt(0)
	v_mul_f64 v[4:5], v[8:9], v[2:3]
	v_fma_f64 v[28:29], v[6:7], v[0:1], v[4:5]
	v_mul_f64 v[0:1], v[8:9], v[0:1]
	v_fma_f64 v[32:33], v[6:7], v[2:3], -v[0:1]
	ds_read_b128 v[0:3], v204 offset:4080
	s_clause 0x3
	buffer_load_dword v6, off, s[60:63], 0 offset:1488
	buffer_load_dword v7, off, s[60:63], 0 offset:1492
	;; [unrolled: 1-line block ×4, first 2 shown]
	s_waitcnt vmcnt(0) lgkmcnt(0)
	v_mul_f64 v[4:5], v[8:9], v[2:3]
	v_fma_f64 v[30:31], v[6:7], v[0:1], v[4:5]
	v_mul_f64 v[0:1], v[8:9], v[0:1]
	v_add_f64 v[140:141], v[28:29], -v[30:31]
	v_fma_f64 v[34:35], v[6:7], v[2:3], -v[0:1]
	ds_read_b128 v[0:3], v204 offset:5984
	s_clause 0x3
	buffer_load_dword v6, off, s[60:63], 0 offset:1472
	buffer_load_dword v7, off, s[60:63], 0 offset:1476
	;; [unrolled: 1-line block ×4, first 2 shown]
	s_waitcnt vmcnt(0) lgkmcnt(0)
	v_mul_f64 v[4:5], v[8:9], v[2:3]
	v_fma_f64 v[120:121], v[6:7], v[0:1], v[4:5]
	v_mul_f64 v[0:1], v[8:9], v[0:1]
	v_fma_f64 v[122:123], v[6:7], v[2:3], -v[0:1]
	ds_read_b128 v[0:3], v204 offset:7888
	s_clause 0x3
	buffer_load_dword v6, off, s[60:63], 0 offset:1456
	buffer_load_dword v7, off, s[60:63], 0 offset:1460
	;; [unrolled: 1-line block ×4, first 2 shown]
	s_waitcnt vmcnt(0) lgkmcnt(0)
	v_mul_f64 v[4:5], v[8:9], v[2:3]
	v_fma_f64 v[124:125], v[6:7], v[0:1], v[4:5]
	v_mul_f64 v[0:1], v[8:9], v[0:1]
	v_add_f64 v[138:139], v[28:29], -v[124:125]
	v_fma_f64 v[126:127], v[6:7], v[2:3], -v[0:1]
	ds_read_b128 v[0:3], v204 offset:2448
	s_clause 0x3
	buffer_load_dword v6, off, s[60:63], 0 offset:1568
	buffer_load_dword v7, off, s[60:63], 0 offset:1572
	buffer_load_dword v8, off, s[60:63], 0 offset:1576
	buffer_load_dword v9, off, s[60:63], 0 offset:1580
	s_waitcnt vmcnt(0) lgkmcnt(0)
	v_mul_f64 v[4:5], v[8:9], v[2:3]
	v_fma_f64 v[108:109], v[6:7], v[0:1], v[4:5]
	v_mul_f64 v[0:1], v[8:9], v[0:1]
	v_fma_f64 v[104:105], v[6:7], v[2:3], -v[0:1]
	ds_read_b128 v[0:3], v204 offset:4352
	s_clause 0x3
	buffer_load_dword v6, off, s[60:63], 0 offset:1552
	buffer_load_dword v7, off, s[60:63], 0 offset:1556
	buffer_load_dword v8, off, s[60:63], 0 offset:1560
	buffer_load_dword v9, off, s[60:63], 0 offset:1564
	s_waitcnt vmcnt(0) lgkmcnt(0)
	v_mul_f64 v[4:5], v[8:9], v[2:3]
	v_fma_f64 v[114:115], v[6:7], v[0:1], v[4:5]
	v_mul_f64 v[0:1], v[8:9], v[0:1]
	;; [unrolled: 11-line block ×20, first 2 shown]
	v_add_f64 v[4:5], v[26:27], -v[22:23]
	ds_read_b128 v[8:11], v204
	v_fma_f64 v[52:53], v[6:7], v[2:3], -v[0:1]
	v_add_f64 v[0:1], v[12:13], -v[16:17]
	v_add_f64 v[2:3], v[24:25], -v[20:21]
	v_add_f64 v[6:7], v[18:19], v[22:23]
	v_add_f64 v[0:1], v[0:1], v[2:3]
	v_add_f64 v[2:3], v[14:15], -v[18:19]
	s_waitcnt lgkmcnt(0)
	v_fma_f64 v[130:131], v[6:7], -0.5, v[10:11]
	v_add_f64 v[2:3], v[2:3], v[4:5]
	v_add_f64 v[4:5], v[16:17], v[20:21]
	v_fma_f64 v[6:7], v[132:133], s[14:15], v[130:131]
	v_fma_f64 v[130:131], v[132:133], s[2:3], v[130:131]
	v_fma_f64 v[36:37], v[4:5], -0.5, v[8:9]
	v_fma_f64 v[6:7], v[134:135], s[6:7], v[6:7]
	v_fma_f64 v[130:131], v[134:135], s[0:1], v[130:131]
	;; [unrolled: 1-line block ×6, first 2 shown]
	v_add_f64 v[130:131], v[14:15], v[26:27]
	v_fma_f64 v[4:5], v[38:39], s[0:1], v[4:5]
	v_fma_f64 v[36:37], v[38:39], s[6:7], v[36:37]
	v_fma_f64 v[130:131], v[130:131], -0.5, v[10:11]
	v_add_f64 v[10:11], v[10:11], v[14:15]
	v_fma_f64 v[4:5], v[0:1], s[12:13], v[4:5]
	v_fma_f64 v[0:1], v[0:1], s[12:13], v[36:37]
	v_add_f64 v[36:37], v[12:13], v[24:25]
	v_add_f64 v[10:11], v[10:11], v[18:19]
	v_fma_f64 v[36:37], v[36:37], -0.5, v[8:9]
	v_add_f64 v[8:9], v[8:9], v[12:13]
	v_add_f64 v[12:13], v[16:17], -v[12:13]
	v_add_f64 v[10:11], v[10:11], v[22:23]
	v_fma_f64 v[136:137], v[38:39], s[2:3], v[36:37]
	v_add_f64 v[8:9], v[8:9], v[16:17]
	v_fma_f64 v[16:17], v[38:39], s[14:15], v[36:37]
	v_add_f64 v[38:39], v[10:11], v[26:27]
	v_add_f64 v[10:11], v[22:23], -v[26:27]
	v_add_f64 v[8:9], v[8:9], v[20:21]
	v_add_f64 v[20:21], v[20:21], -v[24:25]
	v_fma_f64 v[16:17], v[128:129], s[0:1], v[16:17]
	v_add_f64 v[36:37], v[8:9], v[24:25]
	v_add_f64 v[8:9], v[18:19], -v[14:15]
	v_fma_f64 v[14:15], v[134:135], s[2:3], v[130:131]
	v_fma_f64 v[18:19], v[134:135], s[14:15], v[130:131]
	v_add_f64 v[12:13], v[12:13], v[20:21]
	v_fma_f64 v[24:25], v[128:129], s[6:7], v[136:137]
	v_add_f64 v[130:131], v[34:35], -v[122:123]
	v_add_f64 v[136:137], v[30:31], -v[120:121]
	ds_write_b128 v204, v[36:39]
	v_add_f64 v[10:11], v[8:9], v[10:11]
	v_fma_f64 v[8:9], v[132:133], s[6:7], v[14:15]
	v_fma_f64 v[14:15], v[132:133], s[0:1], v[18:19]
	;; [unrolled: 1-line block ×3, first 2 shown]
	v_add_f64 v[132:133], v[32:33], -v[126:127]
	v_fma_f64 v[22:23], v[10:11], s[12:13], v[8:9]
	v_fma_f64 v[8:9], v[12:13], s[12:13], v[24:25]
	v_fma_f64 v[10:11], v[10:11], s[12:13], v[14:15]
	v_add_f64 v[12:13], v[30:31], -v[28:29]
	v_add_f64 v[14:15], v[120:121], -v[124:125]
	ds_read_b128 v[24:27], v204 offset:272
	v_add_f64 v[16:17], v[12:13], v[14:15]
	v_add_f64 v[12:13], v[34:35], -v[32:33]
	v_add_f64 v[14:15], v[122:123], -v[126:127]
	v_add_f64 v[18:19], v[12:13], v[14:15]
	v_add_f64 v[12:13], v[28:29], v[124:125]
	;; [unrolled: 1-line block ×3, first 2 shown]
	s_waitcnt lgkmcnt(0)
	v_fma_f64 v[128:129], v[12:13], -0.5, v[24:25]
	v_fma_f64 v[134:135], v[14:15], -0.5, v[26:27]
	v_fma_f64 v[12:13], v[130:131], s[14:15], v[128:129]
	v_fma_f64 v[14:15], v[136:137], s[2:3], v[134:135]
	;; [unrolled: 1-line block ×12, first 2 shown]
	v_add_f64 v[128:129], v[30:31], v[120:121]
	v_add_f64 v[134:135], v[34:35], v[122:123]
	v_fma_f64 v[128:129], v[128:129], -0.5, v[24:25]
	v_fma_f64 v[134:135], v[134:135], -0.5, v[26:27]
	v_add_f64 v[24:25], v[24:25], v[28:29]
	v_add_f64 v[26:27], v[26:27], v[32:33]
	v_fma_f64 v[142:143], v[132:133], s[2:3], v[128:129]
	v_fma_f64 v[128:129], v[132:133], s[14:15], v[128:129]
	v_add_f64 v[24:25], v[24:25], v[30:31]
	v_add_f64 v[26:27], v[26:27], v[34:35]
	;; [unrolled: 1-line block ×4, first 2 shown]
	v_add_f64 v[120:121], v[124:125], -v[120:121]
	v_add_f64 v[28:29], v[24:25], v[124:125]
	v_add_f64 v[30:31], v[26:27], v[126:127]
	v_add_f64 v[24:25], v[32:33], -v[34:35]
	v_add_f64 v[26:27], v[126:127], -v[122:123]
	v_fma_f64 v[32:33], v[138:139], s[14:15], v[134:135]
	v_fma_f64 v[34:35], v[138:139], s[2:3], v[134:135]
	v_add_f64 v[120:121], v[140:141], v[120:121]
	v_fma_f64 v[122:123], v[130:131], s[0:1], v[142:143]
	v_fma_f64 v[124:125], v[130:131], s[6:7], v[128:129]
	v_add_f64 v[26:27], v[24:25], v[26:27]
	v_fma_f64 v[24:25], v[136:137], s[6:7], v[32:33]
	v_fma_f64 v[126:127], v[136:137], s[0:1], v[34:35]
	;; [unrolled: 1-line block ×6, first 2 shown]
	ds_read_b128 v[36:39], v204 offset:1632
	ds_read_b128 v[120:123], v204 offset:544
	ds_read_b128 v[124:127], v204 offset:816
	ds_read_b128 v[128:131], v204 offset:1088
	ds_read_b128 v[132:135], v204 offset:1360
	ds_write_b128 v205, v[4:7] offset:1904
	ds_write_b128 v205, v[20:23] offset:3808
	;; [unrolled: 1-line block ×9, first 2 shown]
	v_add_f64 v[0:1], v[108:109], -v[114:115]
	v_add_f64 v[2:3], v[118:119], -v[112:113]
	;; [unrolled: 1-line block ×6, first 2 shown]
	s_waitcnt lgkmcnt(12)
	v_add_f64 v[20:21], v[120:121], v[108:109]
	v_add_f64 v[22:23], v[122:123], v[104:105]
	v_add_f64 v[24:25], v[114:115], -v[108:109]
	v_add_f64 v[30:31], v[110:111], -v[116:117]
	v_add_f64 v[4:5], v[0:1], v[2:3]
	v_add_f64 v[0:1], v[104:105], -v[106:107]
	v_add_f64 v[2:3], v[116:117], -v[110:111]
	v_add_f64 v[20:21], v[20:21], v[114:115]
	v_add_f64 v[6:7], v[0:1], v[2:3]
	;; [unrolled: 1-line block ×4, first 2 shown]
	s_waitcnt lgkmcnt(10)
	v_add_f64 v[114:115], v[130:131], v[72:73]
	v_fma_f64 v[8:9], v[0:1], -0.5, v[120:121]
	v_fma_f64 v[14:15], v[2:3], -0.5, v[122:123]
	v_fma_f64 v[0:1], v[12:13], s[2:3], v[8:9]
	v_fma_f64 v[8:9], v[12:13], s[14:15], v[8:9]
	;; [unrolled: 1-line block ×10, first 2 shown]
	v_add_f64 v[8:9], v[108:109], v[118:119]
	v_fma_f64 v[2:3], v[6:7], s[12:13], v[2:3]
	v_fma_f64 v[6:7], v[6:7], s[12:13], v[14:15]
	v_add_f64 v[14:15], v[104:105], v[116:117]
	v_add_f64 v[108:109], v[124:125], v[92:93]
	v_fma_f64 v[8:9], v[8:9], -0.5, v[120:121]
	v_fma_f64 v[14:15], v[14:15], -0.5, v[122:123]
	v_add_f64 v[108:109], v[108:109], v[98:99]
	v_fma_f64 v[26:27], v[10:11], s[14:15], v[8:9]
	v_fma_f64 v[28:29], v[10:11], s[2:3], v[8:9]
	v_add_f64 v[8:9], v[22:23], v[106:107]
	v_add_f64 v[10:11], v[20:21], v[112:113]
	v_add_f64 v[22:23], v[112:113], -v[118:119]
	v_fma_f64 v[32:33], v[18:19], s[2:3], v[14:15]
	v_fma_f64 v[14:15], v[18:19], s[14:15], v[14:15]
	v_add_f64 v[20:21], v[8:9], v[110:111]
	v_add_f64 v[8:9], v[10:11], v[118:119]
	;; [unrolled: 1-line block ×3, first 2 shown]
	v_fma_f64 v[22:23], v[12:13], s[0:1], v[26:27]
	v_fma_f64 v[24:25], v[12:13], s[6:7], v[28:29]
	;; [unrolled: 1-line block ×4, first 2 shown]
	v_add_f64 v[32:33], v[88:89], -v[100:101]
	v_add_f64 v[110:111], v[126:127], v[88:89]
	s_waitcnt lgkmcnt(9)
	v_add_f64 v[118:119], v[134:135], v[56:57]
	v_add_f64 v[10:11], v[20:21], v[116:117]
	v_add_f64 v[20:21], v[106:107], -v[104:105]
	v_add_f64 v[104:105], v[92:93], -v[102:103]
	v_fma_f64 v[12:13], v[18:19], s[12:13], v[22:23]
	v_fma_f64 v[16:17], v[18:19], s[12:13], v[24:25]
	v_add_f64 v[22:23], v[102:103], -v[96:97]
	v_add_f64 v[106:107], v[98:99], -v[96:97]
	ds_write_b128 v204, v[8:11] offset:544
	v_add_f64 v[20:21], v[20:21], v[30:31]
	v_add_f64 v[30:31], v[90:91], -v[94:95]
	v_add_nc_u32_e32 v8, 0x220, v204
	v_fma_f64 v[14:15], v[20:21], s[12:13], v[26:27]
	v_fma_f64 v[18:19], v[20:21], s[12:13], v[28:29]
	v_add_f64 v[20:21], v[92:93], -v[98:99]
	v_add_f64 v[24:25], v[20:21], v[22:23]
	v_add_f64 v[20:21], v[88:89], -v[90:91]
	v_add_f64 v[22:23], v[100:101], -v[94:95]
	v_add_f64 v[26:27], v[20:21], v[22:23]
	v_add_f64 v[20:21], v[98:99], v[96:97]
	;; [unrolled: 1-line block ×3, first 2 shown]
	v_fma_f64 v[28:29], v[20:21], -0.5, v[124:125]
	v_fma_f64 v[34:35], v[22:23], -0.5, v[126:127]
	v_fma_f64 v[20:21], v[32:33], s[2:3], v[28:29]
	v_fma_f64 v[28:29], v[32:33], s[14:15], v[28:29]
	;; [unrolled: 1-line block ×10, first 2 shown]
	v_add_f64 v[28:29], v[92:93], v[102:103]
	v_fma_f64 v[22:23], v[26:27], s[12:13], v[22:23]
	v_fma_f64 v[26:27], v[26:27], s[12:13], v[34:35]
	v_add_f64 v[34:35], v[88:89], v[100:101]
	v_add_f64 v[92:93], v[98:99], -v[92:93]
	v_add_f64 v[88:89], v[90:91], -v[88:89]
	v_fma_f64 v[28:29], v[28:29], -0.5, v[124:125]
	v_fma_f64 v[34:35], v[34:35], -0.5, v[126:127]
	v_fma_f64 v[98:99], v[30:31], s[14:15], v[28:29]
	v_fma_f64 v[112:113], v[30:31], s[2:3], v[28:29]
	v_add_f64 v[28:29], v[110:111], v[90:91]
	v_add_f64 v[30:31], v[108:109], v[96:97]
	v_add_f64 v[96:97], v[96:97], -v[102:103]
	v_add_f64 v[90:91], v[94:95], -v[100:101]
	;; [unrolled: 1-line block ×3, first 2 shown]
	v_add_f64 v[108:109], v[28:29], v[94:95]
	v_fma_f64 v[94:95], v[106:107], s[2:3], v[34:35]
	v_fma_f64 v[34:35], v[106:107], s[14:15], v[34:35]
	v_add_f64 v[92:93], v[92:93], v[96:97]
	v_fma_f64 v[96:97], v[32:33], s[0:1], v[98:99]
	v_fma_f64 v[98:99], v[32:33], s[6:7], v[112:113]
	v_add_f64 v[90:91], v[88:89], v[90:91]
	v_add_f64 v[28:29], v[30:31], v[102:103]
	v_add_f64 v[102:103], v[72:73], -v[84:85]
	v_add_f64 v[112:113], v[128:129], v[76:77]
	v_add_f64 v[30:31], v[108:109], v[100:101]
	v_fma_f64 v[88:89], v[104:105], s[6:7], v[94:95]
	v_fma_f64 v[94:95], v[104:105], s[0:1], v[34:35]
	v_add_f64 v[104:105], v[74:75], -v[78:79]
	v_fma_f64 v[32:33], v[92:93], s[12:13], v[96:97]
	v_add_f64 v[108:109], v[76:77], -v[86:87]
	ds_write_b128 v8, v[0:3] offset:1904
	ds_write_b128 v8, v[12:15] offset:3808
	;; [unrolled: 1-line block ×5, first 2 shown]
	v_add_f64 v[112:113], v[112:113], v[82:83]
	v_add_nc_u32_e32 v0, 0x330, v204
	v_fma_f64 v[34:35], v[90:91], s[12:13], v[88:89]
	v_fma_f64 v[88:89], v[92:93], s[12:13], v[98:99]
	;; [unrolled: 1-line block ×3, first 2 shown]
	v_add_f64 v[92:93], v[76:77], -v[82:83]
	v_add_f64 v[94:95], v[86:87], -v[80:81]
	v_add_f64 v[96:97], v[92:93], v[94:95]
	v_add_f64 v[92:93], v[72:73], -v[74:75]
	v_add_f64 v[94:95], v[84:85], -v[78:79]
	v_add_f64 v[98:99], v[92:93], v[94:95]
	v_add_f64 v[92:93], v[82:83], v[80:81]
	;; [unrolled: 1-line block ×3, first 2 shown]
	v_fma_f64 v[100:101], v[92:93], -0.5, v[128:129]
	v_fma_f64 v[106:107], v[94:95], -0.5, v[130:131]
	v_fma_f64 v[92:93], v[102:103], s[2:3], v[100:101]
	v_fma_f64 v[100:101], v[102:103], s[14:15], v[100:101]
	;; [unrolled: 1-line block ×10, first 2 shown]
	v_add_f64 v[100:101], v[76:77], v[86:87]
	v_fma_f64 v[94:95], v[98:99], s[12:13], v[94:95]
	v_fma_f64 v[98:99], v[98:99], s[12:13], v[106:107]
	v_add_f64 v[106:107], v[72:73], v[84:85]
	v_add_f64 v[76:77], v[82:83], -v[76:77]
	v_add_f64 v[82:83], v[114:115], v[74:75]
	v_add_f64 v[72:73], v[74:75], -v[72:73]
	v_add_f64 v[74:75], v[78:79], -v[84:85]
	;; [unrolled: 1-line block ×3, first 2 shown]
	v_fma_f64 v[100:101], v[100:101], -0.5, v[128:129]
	v_fma_f64 v[106:107], v[106:107], -0.5, v[130:131]
	v_add_f64 v[82:83], v[82:83], v[78:79]
	v_fma_f64 v[116:117], v[104:105], s[14:15], v[100:101]
	v_fma_f64 v[100:101], v[104:105], s[2:3], v[100:101]
	v_add_f64 v[104:105], v[112:113], v[80:81]
	v_add_f64 v[112:113], v[80:81], -v[86:87]
	v_fma_f64 v[78:79], v[110:111], s[2:3], v[106:107]
	v_add_f64 v[82:83], v[82:83], v[84:85]
	v_fma_f64 v[84:85], v[110:111], s[14:15], v[106:107]
	v_add_f64 v[106:107], v[56:57], -v[68:69]
	v_fma_f64 v[100:101], v[102:103], s[6:7], v[100:101]
	v_add_f64 v[80:81], v[104:105], v[86:87]
	v_add_f64 v[76:77], v[76:77], v[112:113]
	v_fma_f64 v[86:87], v[102:103], s[0:1], v[116:117]
	v_add_f64 v[102:103], v[72:73], v[74:75]
	v_fma_f64 v[74:75], v[108:109], s[6:7], v[78:79]
	v_fma_f64 v[78:79], v[108:109], s[0:1], v[84:85]
	v_add_f64 v[84:85], v[60:61], -v[66:67]
	v_add_f64 v[108:109], v[58:59], -v[62:63]
	v_add_f64 v[112:113], v[60:61], -v[70:71]
	v_add_f64 v[116:117], v[132:133], v[60:61]
	ds_write_b128 v0, v[20:23] offset:1904
	ds_write_b128 v0, v[32:35] offset:3808
	;; [unrolled: 1-line block ×5, first 2 shown]
	v_add_nc_u32_e32 v0, 0x440, v204
	v_fma_f64 v[72:73], v[76:77], s[12:13], v[86:87]
	v_add_f64 v[86:87], v[70:71], -v[64:65]
	v_fma_f64 v[76:77], v[76:77], s[12:13], v[100:101]
	v_fma_f64 v[74:75], v[102:103], s[12:13], v[74:75]
	;; [unrolled: 1-line block ×3, first 2 shown]
	v_add_f64 v[116:117], v[116:117], v[66:67]
	v_add_f64 v[100:101], v[84:85], v[86:87]
	v_add_f64 v[84:85], v[56:57], -v[58:59]
	v_add_f64 v[86:87], v[68:69], -v[62:63]
	v_add_f64 v[102:103], v[84:85], v[86:87]
	v_add_f64 v[84:85], v[66:67], v[64:65]
	;; [unrolled: 1-line block ×3, first 2 shown]
	v_fma_f64 v[104:105], v[84:85], -0.5, v[132:133]
	v_fma_f64 v[110:111], v[86:87], -0.5, v[134:135]
	v_fma_f64 v[84:85], v[106:107], s[2:3], v[104:105]
	v_fma_f64 v[104:105], v[106:107], s[14:15], v[104:105]
	;; [unrolled: 1-line block ×10, first 2 shown]
	v_add_f64 v[104:105], v[60:61], v[70:71]
	v_fma_f64 v[86:87], v[102:103], s[12:13], v[86:87]
	v_fma_f64 v[102:103], v[102:103], s[12:13], v[110:111]
	v_add_f64 v[110:111], v[56:57], v[68:69]
	v_add_f64 v[60:61], v[66:67], -v[60:61]
	v_add_f64 v[66:67], v[118:119], v[58:59]
	v_add_f64 v[56:57], v[58:59], -v[56:57]
	v_add_f64 v[58:59], v[62:63], -v[68:69]
	;; [unrolled: 1-line block ×3, first 2 shown]
	v_fma_f64 v[104:105], v[104:105], -0.5, v[132:133]
	v_fma_f64 v[110:111], v[110:111], -0.5, v[134:135]
	v_add_f64 v[66:67], v[66:67], v[62:63]
	v_fma_f64 v[120:121], v[108:109], s[14:15], v[104:105]
	v_fma_f64 v[104:105], v[108:109], s[2:3], v[104:105]
	v_add_f64 v[108:109], v[116:117], v[64:65]
	v_add_f64 v[116:117], v[64:65], -v[70:71]
	v_fma_f64 v[62:63], v[114:115], s[2:3], v[110:111]
	v_add_f64 v[66:67], v[66:67], v[68:69]
	v_fma_f64 v[68:69], v[114:115], s[14:15], v[110:111]
	v_add_f64 v[110:111], v[40:41], -v[52:53]
	v_fma_f64 v[104:105], v[106:107], s[6:7], v[104:105]
	v_add_f64 v[64:65], v[108:109], v[70:71]
	v_add_f64 v[60:61], v[60:61], v[116:117]
	v_fma_f64 v[70:71], v[106:107], s[0:1], v[120:121]
	v_add_f64 v[106:107], v[56:57], v[58:59]
	v_fma_f64 v[58:59], v[112:113], s[6:7], v[62:63]
	v_fma_f64 v[62:63], v[112:113], s[0:1], v[68:69]
	v_add_f64 v[68:69], v[44:45], -v[50:51]
	v_add_f64 v[116:117], v[44:45], -v[54:55]
	;; [unrolled: 1-line block ×3, first 2 shown]
	ds_write_b128 v0, v[92:95] offset:1904
	ds_write_b128 v0, v[72:75] offset:3808
	;; [unrolled: 1-line block ×5, first 2 shown]
	v_add_nc_u32_e32 v0, 0x550, v204
	v_fma_f64 v[56:57], v[60:61], s[12:13], v[70:71]
	v_add_f64 v[70:71], v[54:55], -v[48:49]
	v_fma_f64 v[60:61], v[60:61], s[12:13], v[104:105]
	v_fma_f64 v[58:59], v[106:107], s[12:13], v[58:59]
	;; [unrolled: 1-line block ×3, first 2 shown]
	v_add_f64 v[104:105], v[68:69], v[70:71]
	v_add_f64 v[68:69], v[40:41], -v[42:43]
	v_add_f64 v[70:71], v[52:53], -v[46:47]
	v_add_f64 v[106:107], v[68:69], v[70:71]
	v_add_f64 v[70:71], v[42:43], v[46:47]
	;; [unrolled: 1-line block ×3, first 2 shown]
	v_fma_f64 v[114:115], v[70:71], -0.5, v[38:39]
	v_fma_f64 v[108:109], v[68:69], -0.5, v[36:37]
	v_fma_f64 v[70:71], v[116:117], s[14:15], v[114:115]
	v_fma_f64 v[114:115], v[116:117], s[2:3], v[114:115]
	;; [unrolled: 1-line block ×10, first 2 shown]
	v_add_f64 v[114:115], v[40:41], v[52:53]
	v_fma_f64 v[68:69], v[104:105], s[12:13], v[68:69]
	v_fma_f64 v[104:105], v[104:105], s[12:13], v[108:109]
	v_add_f64 v[108:109], v[44:45], v[54:55]
	v_fma_f64 v[114:115], v[114:115], -0.5, v[38:39]
	v_add_f64 v[38:39], v[38:39], v[40:41]
	v_add_f64 v[40:41], v[42:43], -v[40:41]
	v_fma_f64 v[108:109], v[108:109], -0.5, v[36:37]
	v_add_f64 v[36:37], v[36:37], v[44:45]
	v_add_f64 v[44:45], v[50:51], -v[44:45]
	v_add_f64 v[38:39], v[38:39], v[42:43]
	v_add_f64 v[42:43], v[46:47], -v[52:53]
	v_add_f64 v[36:37], v[36:37], v[50:51]
	v_fma_f64 v[50:51], v[112:113], s[14:15], v[108:109]
	v_fma_f64 v[108:109], v[112:113], s[2:3], v[108:109]
	v_add_f64 v[38:39], v[38:39], v[46:47]
	v_fma_f64 v[46:47], v[118:119], s[2:3], v[114:115]
	s_mul_i32 s2, s9, 0x550
	v_add_f64 v[36:37], v[36:37], v[48:49]
	v_add_f64 v[48:49], v[48:49], -v[54:55]
	s_mul_hi_u32 s3, s8, 0x550
	s_add_i32 s2, s3, s2
	s_mul_i32 s3, s8, 0x550
	v_add_f64 v[38:39], v[38:39], v[52:53]
	v_fma_f64 v[52:53], v[118:119], s[14:15], v[114:115]
	v_add_f64 v[36:37], v[36:37], v[54:55]
	v_add_f64 v[44:45], v[44:45], v[48:49]
	v_fma_f64 v[48:49], v[110:111], s[0:1], v[50:51]
	v_add_f64 v[54:55], v[40:41], v[42:43]
	v_fma_f64 v[42:43], v[116:117], s[6:7], v[46:47]
	v_fma_f64 v[50:51], v[110:111], s[6:7], v[108:109]
	ds_write_b128 v0, v[84:87] offset:1904
	ds_write_b128 v0, v[56:59] offset:3808
	;; [unrolled: 1-line block ×5, first 2 shown]
	v_add_nc_u32_e32 v0, 0x660, v204
	v_fma_f64 v[46:47], v[116:117], s[0:1], v[52:53]
	s_mov_b32 s0, 0x1b89401c
	s_mov_b32 s1, 0x3f5b8940
	s_mul_i32 s6, s9, 0xffffe680
	v_fma_f64 v[40:41], v[44:45], s[12:13], v[48:49]
	s_sub_i32 s6, s6, s8
	v_fma_f64 v[42:43], v[54:55], s[12:13], v[42:43]
	v_fma_f64 v[44:45], v[44:45], s[12:13], v[50:51]
	;; [unrolled: 1-line block ×3, first 2 shown]
	ds_write_b128 v0, v[68:71] offset:1904
	ds_write_b128 v0, v[40:43] offset:3808
	;; [unrolled: 1-line block ×4, first 2 shown]
	s_waitcnt lgkmcnt(0)
	s_barrier
	buffer_gl0_inv
	ds_read_b128 v[8:11], v204
	s_clause 0x3
	buffer_load_dword v20, off, s[60:63], 0 offset:816
	buffer_load_dword v21, off, s[60:63], 0 offset:820
	;; [unrolled: 1-line block ×4, first 2 shown]
	ds_read_b128 v[0:3], v204 offset:1360
	s_clause 0x2
	buffer_load_dword v4, off, s[60:63], 0 offset:264
	buffer_load_dword v5, off, s[60:63], 0 offset:268
	buffer_load_dword v32, off, s[60:63], 0
	s_waitcnt vmcnt(3) lgkmcnt(1)
	v_mul_f64 v[16:17], v[22:23], v[8:9]
	v_mul_f64 v[12:13], v[22:23], v[10:11]
	s_waitcnt vmcnt(2)
	v_mov_b32_e32 v22, v4
	s_waitcnt vmcnt(1)
	ds_read_b128 v[4:7], v204 offset:2720
	v_mad_u64_u32 v[14:15], null, s10, v22, 0
	v_fma_f64 v[16:17], v[20:21], v[10:11], -v[16:17]
	v_fma_f64 v[18:19], v[20:21], v[8:9], v[12:13]
	ds_read_b128 v[8:11], v204 offset:272
	s_clause 0x3
	buffer_load_dword v54, off, s[60:63], 0 offset:400
	buffer_load_dword v55, off, s[60:63], 0 offset:404
	;; [unrolled: 1-line block ×4, first 2 shown]
	ds_read_b128 v[26:29], v204 offset:2992
	s_waitcnt vmcnt(4)
	v_mad_u64_u32 v[12:13], null, s8, v32, 0
	v_mad_u64_u32 v[52:53], null, s9, v32, v[13:14]
	v_mov_b32_e32 v13, v52
	v_mad_u64_u32 v[30:31], null, s11, v22, v[15:16]
	ds_read_b128 v[22:25], v204 offset:1088
	s_clause 0x3
	buffer_load_dword v58, off, s[60:63], 0 offset:416
	buffer_load_dword v59, off, s[60:63], 0 offset:420
	;; [unrolled: 1-line block ×4, first 2 shown]
	v_mul_f64 v[38:39], v[18:19], s[0:1]
	ds_read_b128 v[34:37], v204 offset:5440
	ds_read_b128 v[42:45], v204 offset:6800
	v_mul_f64 v[40:41], v[16:17], s[0:1]
	v_mov_b32_e32 v15, v30
	ds_read_b128 v[30:33], v204 offset:4080
	v_lshlrev_b64 v[12:13], 4, v[12:13]
	v_lshlrev_b64 v[18:19], 4, v[14:15]
	ds_read_b128 v[14:17], v204 offset:8160
	v_add_co_u32 v90, vcc_lo, s4, v18
	v_add_co_ci_u32_e32 v91, vcc_lo, s5, v19, vcc_lo
	s_mul_hi_u32 s5, s8, 0xffffe130
	v_add_co_u32 v76, vcc_lo, v90, v12
	v_add_co_ci_u32_e32 v77, vcc_lo, v91, v13, vcc_lo
	s_mul_i32 s4, s9, 0xffffe130
	s_sub_i32 s5, s5, s8
	s_add_i32 s4, s5, s4
	s_mul_i32 s5, s8, 0xffffe130
	s_waitcnt vmcnt(4) lgkmcnt(8)
	v_mul_f64 v[20:21], v[56:57], v[2:3]
	v_mul_f64 v[46:47], v[56:57], v[0:1]
	s_waitcnt vmcnt(0) lgkmcnt(7)
	v_mul_f64 v[48:49], v[60:61], v[6:7]
	v_mul_f64 v[50:51], v[60:61], v[4:5]
	v_fma_f64 v[52:53], v[54:55], v[0:1], v[20:21]
	v_fma_f64 v[54:55], v[54:55], v[2:3], -v[46:47]
	ds_read_b128 v[0:3], v204 offset:3808
	s_clause 0x3
	buffer_load_dword v92, off, s[60:63], 0 offset:384
	buffer_load_dword v93, off, s[60:63], 0 offset:388
	;; [unrolled: 1-line block ×4, first 2 shown]
	v_fma_f64 v[56:57], v[58:59], v[4:5], v[48:49]
	v_fma_f64 v[58:59], v[58:59], v[6:7], -v[50:51]
	ds_read_b128 v[4:7], v204 offset:5712
	s_clause 0x3
	buffer_load_dword v84, off, s[60:63], 0 offset:368
	buffer_load_dword v85, off, s[60:63], 0 offset:372
	;; [unrolled: 1-line block ×4, first 2 shown]
	ds_read_b128 v[18:21], v204 offset:6528
	s_clause 0x3
	buffer_load_dword v78, off, s[60:63], 0 offset:336
	buffer_load_dword v79, off, s[60:63], 0 offset:340
	;; [unrolled: 1-line block ×4, first 2 shown]
	ds_read_b128 v[46:49], v204 offset:8432
	v_mul_f64 v[50:51], v[52:53], s[0:1]
	v_mul_f64 v[52:53], v[54:55], s[0:1]
	;; [unrolled: 1-line block ×4, first 2 shown]
	v_add_co_u32 v58, vcc_lo, v76, s3
	v_add_co_ci_u32_e32 v59, vcc_lo, s2, v77, vcc_lo
	s_waitcnt vmcnt(8) lgkmcnt(5)
	v_mul_f64 v[60:61], v[94:95], v[32:33]
	v_mul_f64 v[62:63], v[94:95], v[30:31]
	s_waitcnt vmcnt(4)
	v_mul_f64 v[64:65], v[86:87], v[36:37]
	v_mul_f64 v[66:67], v[86:87], v[34:35]
	s_waitcnt vmcnt(0)
	v_mul_f64 v[68:69], v[80:81], v[44:45]
	v_mul_f64 v[70:71], v[80:81], v[42:43]
	s_clause 0x3
	buffer_load_dword v80, off, s[60:63], 0 offset:352
	buffer_load_dword v81, off, s[60:63], 0 offset:356
	;; [unrolled: 1-line block ×4, first 2 shown]
	v_fma_f64 v[30:31], v[92:93], v[30:31], v[60:61]
	v_fma_f64 v[32:33], v[92:93], v[32:33], -v[62:63]
	v_fma_f64 v[60:61], v[84:85], v[34:35], v[64:65]
	v_fma_f64 v[62:63], v[84:85], v[36:37], -v[66:67]
	;; [unrolled: 2-line block ×3, first 2 shown]
	v_add_co_u32 v70, vcc_lo, v58, s3
	v_add_co_ci_u32_e32 v71, vcc_lo, s2, v59, vcc_lo
	v_mul_f64 v[30:31], v[30:31], s[0:1]
	v_mul_f64 v[32:33], v[32:33], s[0:1]
	;; [unrolled: 1-line block ×4, first 2 shown]
	s_waitcnt vmcnt(0) lgkmcnt(4)
	v_mul_f64 v[72:73], v[82:83], v[16:17]
	v_mul_f64 v[74:75], v[82:83], v[14:15]
	v_fma_f64 v[64:65], v[80:81], v[14:15], v[72:73]
	v_fma_f64 v[16:17], v[80:81], v[16:17], -v[74:75]
	s_clause 0x3
	buffer_load_dword v72, off, s[60:63], 0 offset:320
	buffer_load_dword v73, off, s[60:63], 0 offset:324
	;; [unrolled: 1-line block ×4, first 2 shown]
	ds_read_b128 v[12:15], v204 offset:1632
	global_store_dwordx4 v[76:77], v[38:41], off
	global_store_dwordx4 v[58:59], v[50:53], off
	;; [unrolled: 1-line block ×3, first 2 shown]
	ds_read_b128 v[34:37], v204 offset:4352
	v_mul_f64 v[38:39], v[60:61], s[0:1]
	v_mul_f64 v[40:41], v[62:63], s[0:1]
	v_add_co_u32 v58, vcc_lo, v70, s3
	v_add_co_ci_u32_e32 v59, vcc_lo, s2, v71, vcc_lo
	v_mul_f64 v[50:51], v[64:65], s[0:1]
	v_mul_f64 v[52:53], v[16:17], s[0:1]
	s_waitcnt vmcnt(0)
	v_mul_f64 v[66:67], v[74:75], v[10:11]
	v_mul_f64 v[68:69], v[74:75], v[8:9]
	v_fma_f64 v[16:17], v[72:73], v[8:9], v[66:67]
	v_fma_f64 v[60:61], v[72:73], v[10:11], -v[68:69]
	ds_read_b128 v[8:11], v204 offset:1904
	s_clause 0x3
	buffer_load_dword v78, off, s[60:63], 0 offset:288
	buffer_load_dword v79, off, s[60:63], 0 offset:292
	;; [unrolled: 1-line block ×4, first 2 shown]
	v_add_co_u32 v66, vcc_lo, v58, s3
	v_add_co_ci_u32_e32 v67, vcc_lo, s2, v59, vcc_lo
	v_add_co_u32 v76, vcc_lo, v66, s3
	v_add_co_ci_u32_e32 v77, vcc_lo, s2, v67, vcc_lo
	s_waitcnt vmcnt(0) lgkmcnt(2)
	v_mul_f64 v[62:63], v[80:81], v[14:15]
	v_mul_f64 v[64:65], v[80:81], v[12:13]
	s_clause 0x3
	buffer_load_dword v80, off, s[60:63], 0 offset:304
	buffer_load_dword v81, off, s[60:63], 0 offset:308
	;; [unrolled: 1-line block ×4, first 2 shown]
	ds_read_b128 v[54:57], v204 offset:4624
	s_waitcnt vmcnt(0)
	v_mul_f64 v[68:69], v[82:83], v[28:29]
	v_mul_f64 v[70:71], v[82:83], v[26:27]
	s_clause 0x3
	buffer_load_dword v82, off, s[60:63], 0 offset:432
	buffer_load_dword v83, off, s[60:63], 0 offset:436
	;; [unrolled: 1-line block ×4, first 2 shown]
	global_store_dwordx4 v[58:59], v[30:33], off
	v_add_co_u32 v58, vcc_lo, v76, s3
	v_add_co_ci_u32_e32 v59, vcc_lo, s2, v77, vcc_lo
	global_store_dwordx4 v[66:67], v[38:41], off
	global_store_dwordx4 v[76:77], v[42:45], off
	v_fma_f64 v[38:39], v[78:79], v[12:13], v[62:63]
	v_fma_f64 v[40:41], v[78:79], v[14:15], -v[64:65]
	global_store_dwordx4 v[58:59], v[50:53], off
	ds_read_b128 v[30:33], v204 offset:7072
	v_mul_f64 v[12:13], v[16:17], s[0:1]
	v_mul_f64 v[14:15], v[60:61], s[0:1]
	v_add_co_u32 v64, vcc_lo, v58, s5
	v_add_co_ci_u32_e32 v65, vcc_lo, s4, v59, vcc_lo
	v_fma_f64 v[16:17], v[80:81], v[26:27], v[68:69]
	v_fma_f64 v[44:45], v[80:81], v[28:29], -v[70:71]
	v_add_co_u32 v68, vcc_lo, v64, s3
	v_add_co_ci_u32_e32 v69, vcc_lo, s2, v65, vcc_lo
	v_mul_f64 v[42:43], v[16:17], s[0:1]
	v_mul_f64 v[44:45], v[44:45], s[0:1]
	s_waitcnt vmcnt(0) lgkmcnt(3)
	v_mul_f64 v[72:73], v[84:85], v[36:37]
	v_mul_f64 v[74:75], v[84:85], v[34:35]
	v_add_co_u32 v84, vcc_lo, v68, s3
	v_add_co_ci_u32_e32 v85, vcc_lo, s2, v69, vcc_lo
	v_fma_f64 v[50:51], v[82:83], v[34:35], v[72:73]
	v_fma_f64 v[52:53], v[82:83], v[36:37], -v[74:75]
	s_clause 0x3
	buffer_load_dword v72, off, s[60:63], 0 offset:576
	buffer_load_dword v73, off, s[60:63], 0 offset:580
	buffer_load_dword v74, off, s[60:63], 0 offset:584
	buffer_load_dword v75, off, s[60:63], 0 offset:588
	ds_read_b128 v[26:29], v204 offset:544
	v_mul_f64 v[34:35], v[38:39], s[0:1]
	v_mul_f64 v[36:37], v[40:41], s[0:1]
	ds_read_b128 v[38:41], v204 offset:7344
	s_clause 0x7
	buffer_load_dword v86, off, s[60:63], 0 offset:496
	buffer_load_dword v87, off, s[60:63], 0 offset:500
	;; [unrolled: 1-line block ×8, first 2 shown]
	v_mul_f64 v[50:51], v[50:51], s[0:1]
	v_mul_f64 v[52:53], v[52:53], s[0:1]
	s_waitcnt vmcnt(8)
	v_mul_f64 v[60:61], v[74:75], v[6:7]
	v_mul_f64 v[62:63], v[74:75], v[4:5]
	s_waitcnt vmcnt(4) lgkmcnt(2)
	v_mul_f64 v[66:67], v[88:89], v[32:33]
	s_waitcnt vmcnt(0)
	v_mul_f64 v[74:75], v[94:95], v[46:47]
	v_mul_f64 v[16:17], v[88:89], v[30:31]
	v_fma_f64 v[70:71], v[72:73], v[4:5], v[60:61]
	v_fma_f64 v[62:63], v[72:73], v[6:7], -v[62:63]
	v_mul_f64 v[72:73], v[94:95], v[48:49]
	ds_read_b128 v[4:7], v204 offset:816
	s_clause 0x3
	buffer_load_dword v94, off, s[60:63], 0 offset:624
	buffer_load_dword v95, off, s[60:63], 0 offset:628
	;; [unrolled: 1-line block ×4, first 2 shown]
	v_fma_f64 v[30:31], v[86:87], v[30:31], v[66:67]
	v_add_co_u32 v66, vcc_lo, v84, s3
	v_add_co_ci_u32_e32 v67, vcc_lo, s2, v85, vcc_lo
	v_fma_f64 v[16:17], v[86:87], v[32:33], -v[16:17]
	v_mul_f64 v[30:31], v[30:31], s[0:1]
	v_mul_f64 v[32:33], v[16:17], s[0:1]
	s_waitcnt vmcnt(0) lgkmcnt(2)
	v_mul_f64 v[76:77], v[96:97], v[28:29]
	v_mul_f64 v[78:79], v[96:97], v[26:27]
	s_clause 0x3
	buffer_load_dword v96, off, s[60:63], 0 offset:672
	buffer_load_dword v97, off, s[60:63], 0 offset:676
	;; [unrolled: 1-line block ×4, first 2 shown]
	ds_read_b128 v[58:61], v204 offset:3264
	global_store_dwordx4 v[64:65], v[12:15], off
	global_store_dwordx4 v[68:69], v[34:37], off
	global_store_dwordx4 v[84:85], v[42:45], off
	global_store_dwordx4 v[66:67], v[50:53], off
	v_fma_f64 v[34:35], v[92:93], v[46:47], v[72:73]
	v_fma_f64 v[36:37], v[92:93], v[48:49], -v[74:75]
	v_mul_f64 v[14:15], v[62:63], s[0:1]
	v_add_co_u32 v62, vcc_lo, v66, s3
	v_mul_f64 v[12:13], v[70:71], s[0:1]
	v_add_co_ci_u32_e32 v63, vcc_lo, s2, v67, vcc_lo
	v_add_co_u32 v16, vcc_lo, v62, s3
	v_add_co_ci_u32_e32 v17, vcc_lo, s2, v63, vcc_lo
	v_fma_f64 v[42:43], v[94:95], v[26:27], v[76:77]
	v_fma_f64 v[44:45], v[94:95], v[28:29], -v[78:79]
	v_add_co_u32 v76, vcc_lo, v16, s3
	v_add_co_ci_u32_e32 v77, vcc_lo, s2, v17, vcc_lo
	v_mul_f64 v[34:35], v[34:35], s[0:1]
	v_mul_f64 v[36:37], v[36:37], s[0:1]
	;; [unrolled: 1-line block ×4, first 2 shown]
	s_waitcnt vmcnt(0)
	v_mul_f64 v[80:81], v[98:99], v[10:11]
	v_mul_f64 v[82:83], v[98:99], v[8:9]
	v_fma_f64 v[46:47], v[96:97], v[8:9], v[80:81]
	v_fma_f64 v[48:49], v[96:97], v[10:11], -v[82:83]
	ds_read_b128 v[8:11], v204 offset:3536
	s_clause 0x3
	buffer_load_dword v78, off, s[60:63], 0 offset:528
	buffer_load_dword v79, off, s[60:63], 0 offset:532
	;; [unrolled: 1-line block ×4, first 2 shown]
	ds_read_b128 v[26:29], v204 offset:5984
	v_mul_f64 v[46:47], v[46:47], s[0:1]
	v_mul_f64 v[48:49], v[48:49], s[0:1]
	s_waitcnt vmcnt(0) lgkmcnt(2)
	v_mul_f64 v[50:51], v[80:81], v[60:61]
	v_mul_f64 v[64:65], v[80:81], v[58:59]
	s_clause 0x3
	buffer_load_dword v80, off, s[60:63], 0 offset:592
	buffer_load_dword v81, off, s[60:63], 0 offset:596
	;; [unrolled: 1-line block ×4, first 2 shown]
	v_fma_f64 v[70:71], v[78:79], v[58:59], v[50:51]
	ds_read_b128 v[50:53], v204 offset:6256
	v_fma_f64 v[64:65], v[78:79], v[60:61], -v[64:65]
	v_add_co_u32 v78, vcc_lo, v76, s5
	v_add_co_ci_u32_e32 v79, vcc_lo, s4, v77, vcc_lo
	s_waitcnt vmcnt(0)
	v_mul_f64 v[66:67], v[82:83], v[56:57]
	v_mul_f64 v[68:69], v[82:83], v[54:55]
	s_clause 0x3
	buffer_load_dword v82, off, s[60:63], 0 offset:640
	buffer_load_dword v83, off, s[60:63], 0 offset:644
	;; [unrolled: 1-line block ×4, first 2 shown]
	ds_read_b128 v[58:61], v204 offset:8704
	v_fma_f64 v[54:55], v[80:81], v[54:55], v[66:67]
	v_add_co_u32 v66, vcc_lo, v78, s3
	v_add_co_ci_u32_e32 v67, vcc_lo, s2, v79, vcc_lo
	global_store_dwordx4 v[62:63], v[12:15], off
	global_store_dwordx4 v[16:17], v[30:33], off
	;; [unrolled: 1-line block ×5, first 2 shown]
	v_fma_f64 v[56:57], v[80:81], v[56:57], -v[68:69]
	v_mul_f64 v[12:13], v[70:71], s[0:1]
	v_mul_f64 v[14:15], v[64:65], s[0:1]
	v_add_co_u32 v66, vcc_lo, v66, s3
	v_add_co_ci_u32_e32 v67, vcc_lo, s2, v67, vcc_lo
	v_mul_f64 v[30:31], v[54:55], s[0:1]
	v_mul_f64 v[32:33], v[56:57], s[0:1]
	s_waitcnt vmcnt(0) lgkmcnt(2)
	v_mul_f64 v[72:73], v[84:85], v[28:29]
	v_mul_f64 v[74:75], v[84:85], v[26:27]
	v_fma_f64 v[16:17], v[82:83], v[26:27], v[72:73]
	v_fma_f64 v[44:45], v[82:83], v[28:29], -v[74:75]
	s_clause 0x3
	buffer_load_dword v80, off, s[60:63], 0 offset:560
	buffer_load_dword v81, off, s[60:63], 0 offset:564
	;; [unrolled: 1-line block ×4, first 2 shown]
	ds_read_b128 v[26:29], v204 offset:8976
	s_clause 0x4
	buffer_load_dword v76, off, s[60:63], 0 offset:272
	buffer_load_dword v77, off, s[60:63], 0 offset:276
	;; [unrolled: 1-line block ×5, first 2 shown]
	ds_read_b128 v[34:37], v204 offset:2176
	ds_read_b128 v[46:49], v204 offset:4896
	s_clause 0x3
	buffer_load_dword v92, off, s[60:63], 0 offset:480
	buffer_load_dword v93, off, s[60:63], 0 offset:484
	;; [unrolled: 1-line block ×4, first 2 shown]
	v_add_co_u32 v74, vcc_lo, v66, s3
	v_add_co_ci_u32_e32 v75, vcc_lo, s2, v67, vcc_lo
	v_mul_f64 v[42:43], v[16:17], s[0:1]
	v_mul_f64 v[44:45], v[44:45], s[0:1]
	s_waitcnt vmcnt(9)
	v_mul_f64 v[62:63], v[82:83], v[40:41]
	v_mul_f64 v[68:69], v[82:83], v[38:39]
	s_waitcnt vmcnt(5) lgkmcnt(3)
	v_mul_f64 v[64:65], v[78:79], v[60:61]
	v_mul_f64 v[70:71], v[78:79], v[58:59]
	s_waitcnt vmcnt(4)
	v_mad_u64_u32 v[72:73], null, s8, v54, 0
	v_fma_f64 v[16:17], v[80:81], v[38:39], v[62:63]
	v_mov_b32_e32 v38, v73
	v_fma_f64 v[62:63], v[80:81], v[40:41], -v[68:69]
	v_fma_f64 v[58:59], v[76:77], v[58:59], v[64:65]
	v_fma_f64 v[60:61], v[76:77], v[60:61], -v[70:71]
	s_waitcnt vmcnt(0)
	v_mul_f64 v[70:71], v[94:95], v[6:7]
	v_mad_u64_u32 v[64:65], null, s9, v54, v[38:39]
	v_mul_f64 v[76:77], v[94:95], v[4:5]
	ds_read_b128 v[38:41], v204 offset:2448
	s_clause 0x3
	buffer_load_dword v94, off, s[60:63], 0 offset:512
	buffer_load_dword v95, off, s[60:63], 0 offset:516
	;; [unrolled: 1-line block ×4, first 2 shown]
	v_add_co_u32 v68, vcc_lo, v74, s3
	v_add_co_ci_u32_e32 v69, vcc_lo, s2, v75, vcc_lo
	v_mov_b32_e32 v73, v64
	s_waitcnt vmcnt(0) lgkmcnt(2)
	v_mul_f64 v[78:79], v[96:97], v[36:37]
	v_mul_f64 v[80:81], v[96:97], v[34:35]
	s_clause 0x3
	buffer_load_dword v96, off, s[60:63], 0 offset:544
	buffer_load_dword v97, off, s[60:63], 0 offset:548
	;; [unrolled: 1-line block ×4, first 2 shown]
	ds_read_b128 v[54:57], v204 offset:5168
	v_fma_f64 v[34:35], v[94:95], v[34:35], v[78:79]
	v_fma_f64 v[36:37], v[94:95], v[36:37], -v[80:81]
	s_waitcnt vmcnt(0)
	v_mul_f64 v[82:83], v[98:99], v[10:11]
	v_mul_f64 v[84:85], v[98:99], v[8:9]
	s_clause 0x3
	buffer_load_dword v98, off, s[60:63], 0 offset:656
	buffer_load_dword v99, off, s[60:63], 0 offset:660
	;; [unrolled: 1-line block ×4, first 2 shown]
	global_store_dwordx4 v[66:67], v[12:15], off
	global_store_dwordx4 v[74:75], v[30:33], off
	;; [unrolled: 1-line block ×3, first 2 shown]
	ds_read_b128 v[42:45], v204 offset:7616
	v_mul_f64 v[14:15], v[62:63], s[0:1]
	v_mul_f64 v[32:33], v[60:61], s[0:1]
	v_fma_f64 v[60:61], v[92:93], v[4:5], v[70:71]
	v_fma_f64 v[62:63], v[92:93], v[6:7], -v[76:77]
	v_mul_f64 v[12:13], v[16:17], s[0:1]
	v_mul_f64 v[30:31], v[58:59], s[0:1]
	v_lshlrev_b64 v[58:59], 4, v[72:73]
	v_add_co_u32 v16, vcc_lo, v68, s3
	v_add_co_ci_u32_e32 v17, vcc_lo, s2, v69, vcc_lo
	v_fma_f64 v[64:65], v[96:97], v[8:9], v[82:83]
	s_clause 0x3
	buffer_load_dword v80, off, s[60:63], 0 offset:800
	buffer_load_dword v81, off, s[60:63], 0 offset:804
	;; [unrolled: 1-line block ×4, first 2 shown]
	ds_read_b128 v[4:7], v204 offset:7888
	s_clause 0x3
	buffer_load_dword v76, off, s[60:63], 0 offset:768
	buffer_load_dword v77, off, s[60:63], 0 offset:772
	;; [unrolled: 1-line block ×4, first 2 shown]
	v_fma_f64 v[66:67], v[96:97], v[10:11], -v[84:85]
	v_add_co_u32 v8, vcc_lo, v90, v58
	v_add_co_ci_u32_e32 v9, vcc_lo, v91, v59, vcc_lo
	global_store_dwordx4 v[16:17], v[12:15], off
	global_store_dwordx4 v[8:9], v[30:33], off
	v_mul_f64 v[8:9], v[60:61], s[0:1]
	v_mul_f64 v[10:11], v[62:63], s[0:1]
	v_mad_u64_u32 v[58:59], null, 0xffffe680, s8, v[16:17]
	v_mul_f64 v[12:13], v[34:35], s[0:1]
	v_mul_f64 v[14:15], v[36:37], s[0:1]
	;; [unrolled: 1-line block ×3, first 2 shown]
	v_add_nc_u32_e32 v59, s6, v59
	v_mul_f64 v[32:33], v[66:67], s[0:1]
	s_waitcnt vmcnt(8) lgkmcnt(4)
	v_mul_f64 v[86:87], v[100:101], v[48:49]
	v_mul_f64 v[88:89], v[100:101], v[46:47]
	s_waitcnt vmcnt(4)
	v_mul_f64 v[68:69], v[82:83], v[52:53]
	v_fma_f64 v[46:47], v[98:99], v[46:47], v[86:87]
	v_fma_f64 v[48:49], v[98:99], v[48:49], -v[88:89]
	s_waitcnt vmcnt(0) lgkmcnt(1)
	v_mul_f64 v[72:73], v[78:79], v[44:45]
	v_mul_f64 v[74:75], v[78:79], v[42:43]
	;; [unrolled: 1-line block ×3, first 2 shown]
	v_fma_f64 v[16:17], v[80:81], v[50:51], v[68:69]
	v_mul_f64 v[34:35], v[46:47], s[0:1]
	v_mul_f64 v[36:37], v[48:49], s[0:1]
	v_add_co_u32 v48, vcc_lo, v58, s3
	v_add_co_ci_u32_e32 v49, vcc_lo, s2, v59, vcc_lo
	s_clause 0x3
	buffer_load_dword v66, off, s[60:63], 0 offset:704
	buffer_load_dword v67, off, s[60:63], 0 offset:708
	;; [unrolled: 1-line block ×4, first 2 shown]
	v_add_co_u32 v60, vcc_lo, v48, s3
	v_add_co_ci_u32_e32 v61, vcc_lo, s2, v49, vcc_lo
	global_store_dwordx4 v[58:59], v[8:11], off
	v_add_co_u32 v58, vcc_lo, v60, s3
	v_add_co_ci_u32_e32 v59, vcc_lo, s2, v61, vcc_lo
	global_store_dwordx4 v[48:49], v[12:15], off
	global_store_dwordx4 v[60:61], v[30:33], off
	s_clause 0x3
	buffer_load_dword v62, off, s[60:63], 0 offset:448
	buffer_load_dword v63, off, s[60:63], 0 offset:452
	;; [unrolled: 1-line block ×4, first 2 shown]
	v_fma_f64 v[42:43], v[76:77], v[42:43], v[72:73]
	v_fma_f64 v[44:45], v[76:77], v[44:45], -v[74:75]
	ds_read_b128 v[30:33], v204 offset:9248
	v_fma_f64 v[46:47], v[80:81], v[52:53], -v[70:71]
	v_mul_f64 v[8:9], v[16:17], s[0:1]
	global_store_dwordx4 v[58:59], v[34:37], off
	s_clause 0x3
	buffer_load_dword v74, off, s[60:63], 0 offset:720
	buffer_load_dword v75, off, s[60:63], 0 offset:724
	;; [unrolled: 1-line block ×4, first 2 shown]
	v_add_co_u32 v16, vcc_lo, v58, s3
	v_add_co_ci_u32_e32 v17, vcc_lo, s2, v59, vcc_lo
	v_mul_f64 v[12:13], v[42:43], s[0:1]
	v_mul_f64 v[14:15], v[44:45], s[0:1]
	v_add_co_u32 v42, vcc_lo, v16, s3
	v_mul_f64 v[10:11], v[46:47], s[0:1]
	v_add_co_ci_u32_e32 v43, vcc_lo, s2, v17, vcc_lo
	s_waitcnt vmcnt(8)
	v_mul_f64 v[50:51], v[68:69], v[28:29]
	v_mul_f64 v[52:53], v[68:69], v[26:27]
	s_clause 0x3
	buffer_load_dword v68, off, s[60:63], 0 offset:464
	buffer_load_dword v69, off, s[60:63], 0 offset:468
	buffer_load_dword v70, off, s[60:63], 0 offset:472
	buffer_load_dword v71, off, s[60:63], 0 offset:476
	s_waitcnt vmcnt(8)
	v_mul_f64 v[48:49], v[64:65], v[24:25]
	v_mul_f64 v[60:61], v[64:65], v[22:23]
	s_waitcnt vmcnt(4)
	v_mul_f64 v[34:35], v[76:77], v[40:41]
	v_mul_f64 v[36:37], v[76:77], v[38:39]
	s_clause 0x3
	buffer_load_dword v76, off, s[60:63], 0 offset:736
	buffer_load_dword v77, off, s[60:63], 0 offset:740
	;; [unrolled: 1-line block ×4, first 2 shown]
	v_fma_f64 v[26:27], v[66:67], v[26:27], v[50:51]
	v_fma_f64 v[28:29], v[66:67], v[28:29], -v[52:53]
	v_fma_f64 v[22:23], v[62:63], v[22:23], v[48:49]
	v_fma_f64 v[24:25], v[62:63], v[24:25], -v[60:61]
	s_waitcnt vmcnt(4)
	v_mul_f64 v[44:45], v[70:71], v[2:3]
	v_mul_f64 v[46:47], v[70:71], v[0:1]
	s_waitcnt vmcnt(0)
	v_mul_f64 v[48:49], v[78:79], v[56:57]
	v_mul_f64 v[50:51], v[78:79], v[54:55]
	s_clause 0x7
	buffer_load_dword v78, off, s[60:63], 0 offset:752
	buffer_load_dword v79, off, s[60:63], 0 offset:756
	;; [unrolled: 1-line block ×8, first 2 shown]
	s_waitcnt vmcnt(4)
	v_mul_f64 v[52:53], v[80:81], v[20:21]
	v_mul_f64 v[58:59], v[80:81], v[18:19]
	s_clause 0x3
	buffer_load_dword v80, off, s[60:63], 0 offset:784
	buffer_load_dword v81, off, s[60:63], 0 offset:788
	;; [unrolled: 1-line block ×4, first 2 shown]
	s_waitcnt vmcnt(4) lgkmcnt(1)
	v_mul_f64 v[60:61], v[72:73], v[6:7]
	v_mul_f64 v[62:63], v[72:73], v[4:5]
	global_store_dwordx4 v[16:17], v[8:11], off
	global_store_dwordx4 v[42:43], v[12:15], off
	v_mul_f64 v[8:9], v[26:27], s[0:1]
	v_fma_f64 v[12:13], v[74:75], v[38:39], v[34:35]
	v_fma_f64 v[14:15], v[74:75], v[40:41], -v[36:37]
	v_fma_f64 v[16:17], v[68:69], v[0:1], v[44:45]
	v_fma_f64 v[26:27], v[68:69], v[2:3], -v[46:47]
	v_mul_f64 v[0:1], v[22:23], s[0:1]
	v_mul_f64 v[2:3], v[24:25], s[0:1]
	v_fma_f64 v[22:23], v[76:77], v[54:55], v[48:49]
	v_fma_f64 v[24:25], v[76:77], v[56:57], -v[50:51]
	v_mul_f64 v[10:11], v[28:29], s[0:1]
	v_add_co_u32 v34, vcc_lo, v42, s3
	v_add_co_ci_u32_e32 v35, vcc_lo, s2, v43, vcc_lo
	v_add_co_u32 v42, vcc_lo, v34, s5
	v_fma_f64 v[28:29], v[78:79], v[18:19], v[52:53]
	v_fma_f64 v[36:37], v[78:79], v[20:21], -v[58:59]
	v_fma_f64 v[38:39], v[70:71], v[4:5], v[60:61]
	v_fma_f64 v[40:41], v[70:71], v[6:7], -v[62:63]
	v_add_co_ci_u32_e32 v43, vcc_lo, s4, v35, vcc_lo
	v_add_co_u32 v44, vcc_lo, v42, s3
	v_mul_f64 v[4:5], v[12:13], s[0:1]
	v_add_co_ci_u32_e32 v45, vcc_lo, s2, v43, vcc_lo
	v_add_co_u32 v46, vcc_lo, v44, s3
	v_mul_f64 v[6:7], v[14:15], s[0:1]
	v_mul_f64 v[12:13], v[16:17], s[0:1]
	;; [unrolled: 1-line block ×3, first 2 shown]
	v_add_co_ci_u32_e32 v47, vcc_lo, s2, v45, vcc_lo
	v_mul_f64 v[16:17], v[22:23], s[0:1]
	v_mul_f64 v[18:19], v[24:25], s[0:1]
	global_store_dwordx4 v[34:35], v[8:11], off
	global_store_dwordx4 v[42:43], v[0:3], off
	v_mul_f64 v[20:21], v[28:29], s[0:1]
	v_mul_f64 v[22:23], v[36:37], s[0:1]
	;; [unrolled: 1-line block ×4, first 2 shown]
	global_store_dwordx4 v[44:45], v[4:7], off
	s_waitcnt vmcnt(0) lgkmcnt(0)
	v_mul_f64 v[64:65], v[82:83], v[32:33]
	v_mul_f64 v[66:67], v[82:83], v[30:31]
	v_fma_f64 v[30:31], v[80:81], v[30:31], v[64:65]
	v_fma_f64 v[32:33], v[80:81], v[32:33], -v[66:67]
	v_mul_f64 v[28:29], v[30:31], s[0:1]
	v_mul_f64 v[30:31], v[32:33], s[0:1]
	v_add_co_u32 v32, vcc_lo, v46, s3
	v_add_co_ci_u32_e32 v33, vcc_lo, s2, v47, vcc_lo
	v_add_co_u32 v8, vcc_lo, v32, s3
	v_add_co_ci_u32_e32 v9, vcc_lo, s2, v33, vcc_lo
	;; [unrolled: 2-line block ×4, first 2 shown]
	global_store_dwordx4 v[46:47], v[12:15], off
	global_store_dwordx4 v[32:33], v[16:19], off
	;; [unrolled: 1-line block ×5, first 2 shown]
.LBB0_10:
	s_endpgm
	.section	.rodata,"a",@progbits
	.p2align	6, 0x0
	.amdhsa_kernel bluestein_single_fwd_len595_dim1_dp_op_CI_CI
		.amdhsa_group_segment_fixed_size 28560
		.amdhsa_private_segment_fixed_size 2124
		.amdhsa_kernarg_size 104
		.amdhsa_user_sgpr_count 6
		.amdhsa_user_sgpr_private_segment_buffer 1
		.amdhsa_user_sgpr_dispatch_ptr 0
		.amdhsa_user_sgpr_queue_ptr 0
		.amdhsa_user_sgpr_kernarg_segment_ptr 1
		.amdhsa_user_sgpr_dispatch_id 0
		.amdhsa_user_sgpr_flat_scratch_init 0
		.amdhsa_user_sgpr_private_segment_size 0
		.amdhsa_wavefront_size32 1
		.amdhsa_uses_dynamic_stack 0
		.amdhsa_system_sgpr_private_segment_wavefront_offset 1
		.amdhsa_system_sgpr_workgroup_id_x 1
		.amdhsa_system_sgpr_workgroup_id_y 0
		.amdhsa_system_sgpr_workgroup_id_z 0
		.amdhsa_system_sgpr_workgroup_info 0
		.amdhsa_system_vgpr_workitem_id 0
		.amdhsa_next_free_vgpr 256
		.amdhsa_next_free_sgpr 64
		.amdhsa_reserve_vcc 1
		.amdhsa_reserve_flat_scratch 0
		.amdhsa_float_round_mode_32 0
		.amdhsa_float_round_mode_16_64 0
		.amdhsa_float_denorm_mode_32 3
		.amdhsa_float_denorm_mode_16_64 3
		.amdhsa_dx10_clamp 1
		.amdhsa_ieee_mode 1
		.amdhsa_fp16_overflow 0
		.amdhsa_workgroup_processor_mode 1
		.amdhsa_memory_ordered 1
		.amdhsa_forward_progress 0
		.amdhsa_shared_vgpr_count 0
		.amdhsa_exception_fp_ieee_invalid_op 0
		.amdhsa_exception_fp_denorm_src 0
		.amdhsa_exception_fp_ieee_div_zero 0
		.amdhsa_exception_fp_ieee_overflow 0
		.amdhsa_exception_fp_ieee_underflow 0
		.amdhsa_exception_fp_ieee_inexact 0
		.amdhsa_exception_int_div_zero 0
	.end_amdhsa_kernel
	.text
.Lfunc_end0:
	.size	bluestein_single_fwd_len595_dim1_dp_op_CI_CI, .Lfunc_end0-bluestein_single_fwd_len595_dim1_dp_op_CI_CI
                                        ; -- End function
	.section	.AMDGPU.csdata,"",@progbits
; Kernel info:
; codeLenInByte = 78280
; NumSgprs: 66
; NumVgprs: 256
; ScratchSize: 2124
; MemoryBound: 0
; FloatMode: 240
; IeeeMode: 1
; LDSByteSize: 28560 bytes/workgroup (compile time only)
; SGPRBlocks: 8
; VGPRBlocks: 31
; NumSGPRsForWavesPerEU: 66
; NumVGPRsForWavesPerEU: 256
; Occupancy: 2
; WaveLimiterHint : 1
; COMPUTE_PGM_RSRC2:SCRATCH_EN: 1
; COMPUTE_PGM_RSRC2:USER_SGPR: 6
; COMPUTE_PGM_RSRC2:TRAP_HANDLER: 0
; COMPUTE_PGM_RSRC2:TGID_X_EN: 1
; COMPUTE_PGM_RSRC2:TGID_Y_EN: 0
; COMPUTE_PGM_RSRC2:TGID_Z_EN: 0
; COMPUTE_PGM_RSRC2:TIDIG_COMP_CNT: 0
	.text
	.p2alignl 6, 3214868480
	.fill 48, 4, 3214868480
	.type	__hip_cuid_4808a20c6f1e64ed,@object ; @__hip_cuid_4808a20c6f1e64ed
	.section	.bss,"aw",@nobits
	.globl	__hip_cuid_4808a20c6f1e64ed
__hip_cuid_4808a20c6f1e64ed:
	.byte	0                               ; 0x0
	.size	__hip_cuid_4808a20c6f1e64ed, 1

	.ident	"AMD clang version 19.0.0git (https://github.com/RadeonOpenCompute/llvm-project roc-6.4.0 25133 c7fe45cf4b819c5991fe208aaa96edf142730f1d)"
	.section	".note.GNU-stack","",@progbits
	.addrsig
	.addrsig_sym __hip_cuid_4808a20c6f1e64ed
	.amdgpu_metadata
---
amdhsa.kernels:
  - .args:
      - .actual_access:  read_only
        .address_space:  global
        .offset:         0
        .size:           8
        .value_kind:     global_buffer
      - .actual_access:  read_only
        .address_space:  global
        .offset:         8
        .size:           8
        .value_kind:     global_buffer
      - .actual_access:  read_only
        .address_space:  global
        .offset:         16
        .size:           8
        .value_kind:     global_buffer
      - .actual_access:  read_only
        .address_space:  global
        .offset:         24
        .size:           8
        .value_kind:     global_buffer
      - .actual_access:  read_only
        .address_space:  global
        .offset:         32
        .size:           8
        .value_kind:     global_buffer
      - .offset:         40
        .size:           8
        .value_kind:     by_value
      - .address_space:  global
        .offset:         48
        .size:           8
        .value_kind:     global_buffer
      - .address_space:  global
        .offset:         56
        .size:           8
        .value_kind:     global_buffer
      - .address_space:  global
        .offset:         64
        .size:           8
        .value_kind:     global_buffer
      - .address_space:  global
        .offset:         72
        .size:           8
        .value_kind:     global_buffer
      - .offset:         80
        .size:           4
        .value_kind:     by_value
      - .address_space:  global
        .offset:         88
        .size:           8
        .value_kind:     global_buffer
      - .address_space:  global
        .offset:         96
        .size:           8
        .value_kind:     global_buffer
    .group_segment_fixed_size: 28560
    .kernarg_segment_align: 8
    .kernarg_segment_size: 104
    .language:       OpenCL C
    .language_version:
      - 2
      - 0
    .max_flat_workgroup_size: 51
    .name:           bluestein_single_fwd_len595_dim1_dp_op_CI_CI
    .private_segment_fixed_size: 2124
    .sgpr_count:     66
    .sgpr_spill_count: 0
    .symbol:         bluestein_single_fwd_len595_dim1_dp_op_CI_CI.kd
    .uniform_work_group_size: 1
    .uses_dynamic_stack: false
    .vgpr_count:     256
    .vgpr_spill_count: 665
    .wavefront_size: 32
    .workgroup_processor_mode: 1
amdhsa.target:   amdgcn-amd-amdhsa--gfx1030
amdhsa.version:
  - 1
  - 2
...

	.end_amdgpu_metadata
